;; amdgpu-corpus repo=ROCm/rocFFT kind=compiled arch=gfx1201 opt=O3
	.text
	.amdgcn_target "amdgcn-amd-amdhsa--gfx1201"
	.amdhsa_code_object_version 6
	.protected	bluestein_single_fwd_len588_dim1_half_op_CI_CI ; -- Begin function bluestein_single_fwd_len588_dim1_half_op_CI_CI
	.globl	bluestein_single_fwd_len588_dim1_half_op_CI_CI
	.p2align	8
	.type	bluestein_single_fwd_len588_dim1_half_op_CI_CI,@function
bluestein_single_fwd_len588_dim1_half_op_CI_CI: ; @bluestein_single_fwd_len588_dim1_half_op_CI_CI
; %bb.0:
	s_load_b128 s[12:15], s[0:1], 0x28
	v_mul_u32_u24_e32 v1, 0x30d, v0
	s_mov_b32 s2, exec_lo
	s_delay_alu instid0(VALU_DEP_1) | instskip(NEXT) | instid1(VALU_DEP_1)
	v_lshrrev_b32_e32 v1, 16, v1
	v_mad_co_u64_u32 v[10:11], null, ttmp9, 3, v[1:2]
	v_mov_b32_e32 v11, 0
	s_wait_kmcnt 0x0
	s_delay_alu instid0(VALU_DEP_1)
	v_cmpx_gt_u64_e64 s[12:13], v[10:11]
	s_cbranch_execz .LBB0_18
; %bb.1:
	s_clause 0x1
	s_load_b128 s[4:7], s[0:1], 0x18
	s_load_b128 s[8:11], s[0:1], 0x0
	v_mul_lo_u16 v1, 0x54, v1
	s_load_b64 s[12:13], s[0:1], 0x38
                                        ; implicit-def: $vgpr20
	s_delay_alu instid0(VALU_DEP_1) | instskip(NEXT) | instid1(VALU_DEP_1)
	v_sub_nc_u16 v7, v0, v1
	v_and_b32_e32 v37, 0xffff, v7
	s_delay_alu instid0(VALU_DEP_1)
	v_lshlrev_b32_e32 v25, 2, v37
	s_wait_kmcnt 0x0
	s_load_b128 s[16:19], s[4:5], 0x0
	s_wait_kmcnt 0x0
	v_mad_co_u64_u32 v[0:1], null, s18, v10, 0
	v_mad_co_u64_u32 v[2:3], null, s16, v37, 0
	s_mul_u64 s[2:3], s[16:17], 0x150
	s_delay_alu instid0(VALU_DEP_1) | instskip(NEXT) | instid1(VALU_DEP_1)
	v_mad_co_u64_u32 v[4:5], null, s19, v10, v[1:2]
	v_mad_co_u64_u32 v[5:6], null, s17, v37, v[3:4]
	v_mov_b32_e32 v1, v4
	s_delay_alu instid0(VALU_DEP_1) | instskip(NEXT) | instid1(VALU_DEP_3)
	v_lshlrev_b64_e32 v[0:1], 2, v[0:1]
	v_mov_b32_e32 v3, v5
	s_delay_alu instid0(VALU_DEP_2) | instskip(NEXT) | instid1(VALU_DEP_2)
	v_add_co_u32 v0, vcc_lo, s14, v0
	v_lshlrev_b64_e32 v[2:3], 2, v[2:3]
	s_delay_alu instid0(VALU_DEP_4) | instskip(NEXT) | instid1(VALU_DEP_2)
	v_add_co_ci_u32_e32 v1, vcc_lo, s15, v1, vcc_lo
	v_add_co_u32 v0, vcc_lo, v0, v2
	s_wait_alu 0xfffd
	s_delay_alu instid0(VALU_DEP_2)
	v_add_co_ci_u32_e32 v1, vcc_lo, v1, v3, vcc_lo
	global_load_b32 v4, v[0:1], off
	v_add_co_u32 v0, vcc_lo, v0, s2
	s_wait_alu 0xfffd
	v_add_co_ci_u32_e32 v1, vcc_lo, s3, v1, vcc_lo
	s_clause 0x6
	global_load_b32 v41, v25, s[8:9]
	global_load_b32 v40, v25, s[8:9] offset:336
	global_load_b32 v39, v25, s[8:9] offset:672
	;; [unrolled: 1-line block ×6, first 2 shown]
	v_add_co_u32 v2, vcc_lo, v0, s2
	s_wait_alu 0xfffd
	v_add_co_ci_u32_e32 v3, vcc_lo, s3, v1, vcc_lo
	s_clause 0x1
	global_load_b32 v5, v[0:1], off
	global_load_b32 v6, v[2:3], off
	v_add_co_u32 v0, vcc_lo, v2, s2
	s_wait_alu 0xfffd
	v_add_co_ci_u32_e32 v1, vcc_lo, s3, v3, vcc_lo
	s_delay_alu instid0(VALU_DEP_2) | instskip(SKIP_1) | instid1(VALU_DEP_2)
	v_add_co_u32 v2, vcc_lo, v0, s2
	s_wait_alu 0xfffd
	v_add_co_ci_u32_e32 v3, vcc_lo, s3, v1, vcc_lo
	s_clause 0x1
	global_load_b32 v8, v[0:1], off
	global_load_b32 v9, v[2:3], off
	v_add_co_u32 v0, vcc_lo, v2, s2
	s_wait_alu 0xfffd
	v_add_co_ci_u32_e32 v1, vcc_lo, s3, v3, vcc_lo
	s_delay_alu instid0(VALU_DEP_2) | instskip(SKIP_1) | instid1(VALU_DEP_2)
	v_add_co_u32 v2, vcc_lo, v0, s2
	s_wait_alu 0xfffd
	v_add_co_ci_u32_e32 v3, vcc_lo, s3, v1, vcc_lo
	global_load_b32 v0, v[0:1], off
	global_load_b32 v1, v[2:3], off
	v_mul_hi_u32 v2, 0xaaaaaaab, v10
	s_load_b128 s[4:7], s[6:7], 0x0
	v_cmp_gt_u16_e32 vcc_lo, 28, v7
	s_delay_alu instid0(VALU_DEP_2) | instskip(NEXT) | instid1(VALU_DEP_1)
	v_lshrrev_b32_e32 v2, 1, v2
	v_lshl_add_u32 v2, v2, 1, v2
	s_delay_alu instid0(VALU_DEP_1) | instskip(NEXT) | instid1(VALU_DEP_1)
	v_sub_nc_u32_e32 v2, v10, v2
	v_mul_u32_u24_e32 v2, 0x24c, v2
	s_delay_alu instid0(VALU_DEP_1) | instskip(NEXT) | instid1(VALU_DEP_1)
	v_lshlrev_b32_e32 v45, 2, v2
	v_add_nc_u32_e32 v32, v25, v45
	s_delay_alu instid0(VALU_DEP_1)
	v_add_nc_u32_e32 v12, 0x400, v32
	s_wait_loadcnt 0xc
	v_lshrrev_b32_e32 v44, 16, v41
	s_wait_loadcnt 0xb
	v_lshrrev_b32_e32 v43, 16, v40
	v_lshrrev_b32_e32 v2, 16, v4
	s_wait_loadcnt 0xa
	v_lshrrev_b32_e32 v42, 16, v39
	s_wait_loadcnt 0x9
	v_lshrrev_b32_e32 v38, 16, v36
	v_mul_f16_e32 v3, v44, v4
	s_wait_loadcnt 0x8
	v_lshrrev_b32_e32 v35, 16, v34
	v_mul_f16_e32 v11, v44, v2
	s_wait_loadcnt 0x7
	v_lshrrev_b32_e32 v33, 16, v31
	s_wait_loadcnt 0x6
	v_lshrrev_b32_e32 v30, 16, v29
	v_fma_f16 v2, v41, v2, -v3
	s_wait_loadcnt 0x5
	v_lshrrev_b32_e32 v13, 16, v5
	v_mul_f16_e32 v14, v43, v5
	v_fmac_f16_e32 v11, v41, v4
	s_delay_alu instid0(VALU_DEP_3) | instskip(NEXT) | instid1(VALU_DEP_3)
	v_mul_f16_e32 v3, v43, v13
	v_fma_f16 v4, v40, v13, -v14
	s_wait_loadcnt 0x4
	v_lshrrev_b32_e32 v13, 16, v6
	v_mul_f16_e32 v14, v42, v6
	v_pack_b32_f16 v2, v11, v2
	v_fmac_f16_e32 v3, v40, v5
	s_delay_alu instid0(VALU_DEP_4)
	v_mul_f16_e32 v11, v42, v13
	s_wait_loadcnt 0x3
	v_lshrrev_b32_e32 v5, 16, v8
	v_fma_f16 v13, v39, v13, -v14
	v_mul_f16_e32 v14, v38, v8
	v_pack_b32_f16 v3, v3, v4
	v_fmac_f16_e32 v11, v39, v6
	v_mul_f16_e32 v4, v38, v5
	s_wait_loadcnt 0x2
	v_lshrrev_b32_e32 v6, 16, v9
	v_fma_f16 v5, v36, v5, -v14
	v_mul_f16_e32 v14, v35, v9
	v_fmac_f16_e32 v4, v36, v8
	s_delay_alu instid0(VALU_DEP_4) | instskip(NEXT) | instid1(VALU_DEP_3)
	v_mul_f16_e32 v15, v35, v6
	v_fma_f16 v6, v34, v6, -v14
	s_wait_loadcnt 0x1
	v_lshrrev_b32_e32 v8, 16, v0
	s_wait_loadcnt 0x0
	v_lshrrev_b32_e32 v16, 16, v1
	v_mul_f16_e32 v14, v33, v0
	v_mul_f16_e32 v18, v30, v1
	v_fmac_f16_e32 v15, v34, v9
	v_mul_f16_e32 v17, v33, v8
	v_mul_f16_e32 v19, v30, v16
	v_fma_f16 v8, v31, v8, -v14
	v_pack_b32_f16 v4, v4, v5
	v_pack_b32_f16 v5, v15, v6
	v_fmac_f16_e32 v17, v31, v0
	v_fma_f16 v0, v29, v16, -v18
	v_fmac_f16_e32 v19, v29, v1
	v_pack_b32_f16 v1, v11, v13
	s_delay_alu instid0(VALU_DEP_4) | instskip(NEXT) | instid1(VALU_DEP_3)
	v_pack_b32_f16 v6, v17, v8
	v_pack_b32_f16 v0, v19, v0
	ds_store_2addr_b32 v32, v2, v3 offset1:84
	ds_store_2addr_b32 v32, v1, v4 offset0:168 offset1:252
	ds_store_2addr_b32 v12, v5, v6 offset0:80 offset1:164
	ds_store_b32 v32, v0 offset:2016
	global_wb scope:SCOPE_SE
	s_wait_dscnt 0x0
	s_wait_kmcnt 0x0
	s_barrier_signal -1
	s_barrier_wait -1
	global_inv scope:SCOPE_SE
	ds_load_2addr_b32 v[0:1], v32 offset1:84
	ds_load_2addr_b32 v[2:3], v32 offset0:168 offset1:252
	ds_load_b32 v8, v32 offset:2016
	ds_load_2addr_b32 v[4:5], v12 offset0:80 offset1:164
	v_mul_lo_u16 v6, v7, 7
	global_wb scope:SCOPE_SE
	s_wait_dscnt 0x0
	s_barrier_signal -1
	s_barrier_wait -1
	global_inv scope:SCOPE_SE
	v_and_b32_e32 v6, 0xffff, v6
                                        ; implicit-def: $vgpr19
	s_delay_alu instid0(VALU_DEP_1)
	v_lshl_add_u32 v26, v6, 2, v45
	v_add_nc_u32_e32 v6, 0x200, v32
	v_pk_add_f16 v9, v1, v8
	v_pk_add_f16 v11, v2, v5
	;; [unrolled: 1-line block ×3, first 2 shown]
	v_pk_add_f16 v2, v2, v5 neg_lo:[0,1] neg_hi:[0,1]
	v_pk_add_f16 v3, v4, v3 neg_lo:[0,1] neg_hi:[0,1]
	;; [unrolled: 1-line block ×3, first 2 shown]
	v_pk_add_f16 v4, v11, v9
	v_pk_add_f16 v5, v11, v9 neg_lo:[0,1] neg_hi:[0,1]
	v_pk_add_f16 v8, v9, v13 neg_lo:[0,1] neg_hi:[0,1]
	v_pk_add_f16 v9, v3, v2
	v_pk_add_f16 v14, v1, v3 neg_lo:[0,1] neg_hi:[0,1]
	v_pk_add_f16 v15, v2, v1 neg_lo:[0,1] neg_hi:[0,1]
	;; [unrolled: 1-line block ×3, first 2 shown]
	v_pk_add_f16 v3, v13, v4
	v_pk_add_f16 v11, v13, v11 neg_lo:[0,1] neg_hi:[0,1]
	v_pk_mul_f16 v4, 0x3a52, v8 op_sel_hi:[0,1]
	v_pk_mul_f16 v5, 0x39e0, v5 op_sel_hi:[0,1]
	v_pk_mul_f16 v8, 0x3b00, v15 op_sel_hi:[0,1]
	v_pk_add_f16 v1, v9, v1
	v_pk_add_f16 v0, v0, v3
	v_pk_mul_f16 v9, 0x3574, v14 op_sel_hi:[0,1]
	v_pk_add_f16 v13, v4, v5 op_sel:[1,1] op_sel_hi:[0,0] neg_lo:[1,1] neg_hi:[1,1]
	v_pk_fma_f16 v14, 0x3574, v14, v8 op_sel_hi:[0,1,1] neg_lo:[0,1,1] neg_hi:[0,1,1]
	v_pk_fma_f16 v5, 0x2b26, v11, v5 op_sel_hi:[0,1,1] neg_lo:[0,1,0] neg_hi:[0,1,0]
	v_pk_fma_f16 v3, 0xbcab, v3, v0 op_sel_hi:[0,1,1]
	v_pk_fma_f16 v8, 0xb846, v2, v8 op_sel_hi:[0,1,1] neg_lo:[0,1,0] neg_hi:[0,1,0]
	v_pk_fma_f16 v4, 0x2b26, v11, v4 op_sel_hi:[0,1,1]
	v_pk_fma_f16 v2, 0xb846, v2, v9 op_sel_hi:[0,1,1]
	;; [unrolled: 1-line block ×3, first 2 shown]
	v_pk_add_f16 v11, v13, v3 op_sel:[0,1] op_sel_hi:[1,0]
	v_pk_fma_f16 v8, 0x370e, v1, v8 op_sel_hi:[0,1,1]
	v_pk_add_f16 v5, v5, v3
	v_pk_fma_f16 v1, 0x370e, v1, v2 op_sel_hi:[0,1,1]
	v_pk_add_f16 v2, v4, v3
	v_pk_add_f16 v3, v11, v9
	v_pk_add_f16 v4, v11, v9 neg_lo:[0,1] neg_hi:[0,1]
	v_pk_add_f16 v9, v5, v8 op_sel:[0,1] op_sel_hi:[1,0] neg_lo:[0,1] neg_hi:[0,1]
	v_pk_add_f16 v5, v5, v8 op_sel:[0,1] op_sel_hi:[1,0]
	v_pk_add_f16 v8, v2, v1 op_sel:[0,1] op_sel_hi:[1,0]
	v_pk_add_f16 v11, v2, v1 op_sel:[0,1] op_sel_hi:[1,0] neg_lo:[0,1] neg_hi:[0,1]
	v_alignbit_b32 v1, v4, v3, 16
	v_alignbit_b32 v3, v3, v4, 16
	v_bfi_b32 v2, 0xffff, v9, v5
	v_bfi_b32 v5, 0xffff, v5, v9
	;; [unrolled: 1-line block ×4, first 2 shown]
	ds_store_2addr_b32 v26, v0, v13 offset1:1
	ds_store_2addr_b32 v26, v1, v2 offset0:2 offset1:3
	ds_store_2addr_b32 v26, v5, v3 offset0:4 offset1:5
	ds_store_b32 v26, v4 offset:24
	global_wb scope:SCOPE_SE
	s_wait_dscnt 0x0
	s_barrier_signal -1
	s_barrier_wait -1
	global_inv scope:SCOPE_SE
	ds_load_2addr_b32 v[0:1], v32 offset1:84
	ds_load_2addr_b32 v[4:5], v6 offset0:68 offset1:152
	ds_load_2addr_b32 v[2:3], v12 offset0:136 offset1:220
	v_lshrrev_b32_e32 v46, 16, v8
                                        ; implicit-def: $vgpr9
	s_and_saveexec_b32 s0, vcc_lo
	s_cbranch_execz .LBB0_3
; %bb.2:
	ds_load_2addr_b32 v[11:12], v6 offset0:40 offset1:236
	ds_load_b32 v9, v32 offset:2240
	s_wait_dscnt 0x1
	v_lshrrev_b32_e32 v46, 16, v11
	v_lshrrev_b32_e32 v20, 16, v12
	s_wait_dscnt 0x0
	v_lshrrev_b32_e32 v19, 16, v9
.LBB0_3:
	s_wait_alu 0xfffe
	s_or_b32 exec_lo, exec_lo, s0
	v_and_b32_e32 v7, 0xff, v37
	v_add_nc_u16 v6, v37, 0x54
	v_add_nc_u16 v14, v37, 0xa8
	s_wait_dscnt 0x1
	v_lshrrev_b32_e32 v28, 16, v4
	s_wait_dscnt 0x0
	v_lshrrev_b32_e32 v52, 16, v2
	v_mul_lo_u16 v13, v7, 37
	v_and_b32_e32 v8, 0xff, v6
	v_and_b32_e32 v15, 0xff, v14
	v_lshrrev_b32_e32 v55, 16, v3
	v_lshrrev_b32_e32 v51, 16, v0
	v_lshrrev_b16 v13, 8, v13
	v_mul_lo_u16 v16, v8, 37
	v_mul_lo_u16 v15, v15, 37
	v_lshrrev_b32_e32 v27, 16, v1
	s_delay_alu instid0(VALU_DEP_4) | instskip(NEXT) | instid1(VALU_DEP_4)
	v_sub_nc_u16 v17, v37, v13
	v_lshrrev_b16 v16, 8, v16
	s_delay_alu instid0(VALU_DEP_4) | instskip(NEXT) | instid1(VALU_DEP_3)
	v_lshrrev_b16 v15, 8, v15
	v_lshrrev_b16 v17, 1, v17
	s_delay_alu instid0(VALU_DEP_3) | instskip(NEXT) | instid1(VALU_DEP_3)
	v_sub_nc_u16 v18, v6, v16
	v_sub_nc_u16 v21, v14, v15
	s_delay_alu instid0(VALU_DEP_3) | instskip(NEXT) | instid1(VALU_DEP_3)
	v_and_b32_e32 v17, 0x7f, v17
	v_lshrrev_b16 v18, 1, v18
	s_delay_alu instid0(VALU_DEP_2) | instskip(NEXT) | instid1(VALU_DEP_4)
	v_add_nc_u16 v13, v17, v13
	v_lshrrev_b16 v17, 1, v21
	s_delay_alu instid0(VALU_DEP_3) | instskip(NEXT) | instid1(VALU_DEP_3)
	v_and_b32_e32 v18, 0x7f, v18
	v_lshrrev_b16 v21, 2, v13
	s_delay_alu instid0(VALU_DEP_3) | instskip(NEXT) | instid1(VALU_DEP_3)
	v_and_b32_e32 v13, 0x7f, v17
	v_add_nc_u16 v16, v18, v16
	s_delay_alu instid0(VALU_DEP_3) | instskip(NEXT) | instid1(VALU_DEP_3)
	v_mul_lo_u16 v17, v21, 7
	v_add_nc_u16 v13, v13, v15
	s_delay_alu instid0(VALU_DEP_3) | instskip(SKIP_1) | instid1(VALU_DEP_4)
	v_lshrrev_b16 v22, 2, v16
	v_and_b32_e32 v21, 0xffff, v21
	v_sub_nc_u16 v15, v37, v17
	s_delay_alu instid0(VALU_DEP_4) | instskip(NEXT) | instid1(VALU_DEP_4)
	v_lshrrev_b16 v47, 2, v13
	v_mul_lo_u16 v13, v22, 7
	s_delay_alu instid0(VALU_DEP_4) | instskip(SKIP_4) | instid1(VALU_DEP_4)
	v_mul_u32_u24_e32 v21, 21, v21
	v_and_b32_e32 v22, 0xffff, v22
	v_and_b32_e32 v23, 0xff, v15
	v_mul_lo_u16 v15, v47, 7
	v_sub_nc_u16 v13, v6, v13
	v_mul_u32_u24_e32 v22, 21, v22
	s_delay_alu instid0(VALU_DEP_4) | instskip(NEXT) | instid1(VALU_DEP_4)
	v_lshlrev_b32_e32 v16, 3, v23
	v_sub_nc_u16 v14, v14, v15
	s_delay_alu instid0(VALU_DEP_4)
	v_and_b32_e32 v24, 0xff, v13
	v_add_nc_u32_e32 v21, v21, v23
	v_lshrrev_b32_e32 v23, 16, v5
	global_load_b64 v[17:18], v16, s[10:11]
	v_and_b32_e32 v48, 0xff, v14
	v_lshlrev_b32_e32 v13, 3, v24
	v_lshl_add_u32 v49, v21, 2, v45
	v_add_nc_u32_e32 v21, v22, v24
	s_delay_alu instid0(VALU_DEP_4)
	v_lshlrev_b32_e32 v14, 3, v48
	s_clause 0x1
	global_load_b64 v[15:16], v13, s[10:11]
	global_load_b64 v[13:14], v14, s[10:11]
	v_lshl_add_u32 v50, v21, 2, v45
	global_wb scope:SCOPE_SE
	s_wait_loadcnt 0x0
	s_barrier_signal -1
	s_barrier_wait -1
	global_inv scope:SCOPE_SE
	v_lshrrev_b32_e32 v61, 16, v17
	v_lshrrev_b32_e32 v60, 16, v18
	s_delay_alu instid0(VALU_DEP_2) | instskip(SKIP_1) | instid1(VALU_DEP_3)
	v_mul_f16_e32 v21, v28, v61
	v_mul_f16_e32 v22, v4, v61
	;; [unrolled: 1-line block ×4, first 2 shown]
	v_lshrrev_b32_e32 v59, 16, v15
	v_lshrrev_b32_e32 v57, 16, v16
	;; [unrolled: 1-line block ×4, first 2 shown]
	v_fma_f16 v4, v4, v17, -v21
	v_fmac_f16_e32 v22, v28, v17
	v_fma_f16 v2, v2, v18, -v24
	v_fmac_f16_e32 v56, v52, v18
	v_mul_f16_e32 v21, v23, v59
	v_mul_f16_e32 v24, v5, v59
	;; [unrolled: 1-line block ×8, first 2 shown]
	v_fma_f16 v5, v5, v15, -v21
	v_fmac_f16_e32 v24, v23, v15
	v_fma_f16 v3, v3, v16, -v28
	v_fmac_f16_e32 v52, v55, v16
	v_fmac_f16_e32 v62, v20, v13
	v_add_f16_e32 v20, v4, v2
	v_sub_f16_e32 v21, v22, v56
	v_add_f16_e32 v23, v51, v22
	v_add_f16_e32 v22, v22, v56
	v_fma_f16 v12, v12, v13, -v58
	v_fma_f16 v9, v9, v14, -v63
	v_fmac_f16_e32 v64, v19, v14
	v_add_f16_e32 v19, v0, v4
	v_fma_f16 v20, -0.5, v20, v0
	v_add_f16_e32 v0, v23, v56
	v_fmac_f16_e32 v51, -0.5, v22
	v_add_f16_e32 v22, v5, v3
	v_sub_f16_e32 v23, v24, v52
	v_add_f16_e32 v28, v27, v24
	v_add_f16_e32 v24, v24, v52
	v_sub_f16_e32 v4, v4, v2
	v_add_f16_e32 v56, v12, v9
	v_sub_f16_e32 v58, v62, v64
	v_add_f16_e32 v63, v46, v62
	v_add_f16_e32 v62, v62, v64
	;; [unrolled: 1-line block ×4, first 2 shown]
	v_sub_f16_e32 v5, v5, v3
	v_add_f16_e32 v55, v11, v12
	v_fmac_f16_e32 v1, -0.5, v22
	v_fmac_f16_e32 v27, -0.5, v24
	v_sub_f16_e32 v65, v12, v9
	v_fmamk_f16 v66, v21, 0x3aee, v20
	v_fmac_f16_e32 v20, 0xbaee, v21
	v_fmamk_f16 v21, v4, 0xbaee, v51
	v_fmac_f16_e32 v11, -0.5, v56
	v_fmac_f16_e32 v46, -0.5, v62
	v_fmac_f16_e32 v51, 0x3aee, v4
	v_add_f16_e32 v4, v2, v3
	v_add_f16_e32 v22, v28, v52
	;; [unrolled: 1-line block ×3, first 2 shown]
	v_pack_b32_f16 v9, v19, v0
	v_fmamk_f16 v0, v23, 0x3aee, v1
	v_fmamk_f16 v28, v5, 0xbaee, v27
	v_fmac_f16_e32 v1, 0xbaee, v23
	v_fmac_f16_e32 v27, 0x3aee, v5
	v_add_f16_e32 v12, v63, v64
	v_fmamk_f16 v3, v58, 0x3aee, v11
	v_fmac_f16_e32 v11, 0xbaee, v58
	v_fmamk_f16 v63, v65, 0xbaee, v46
	v_pack_b32_f16 v5, v66, v21
	v_fmac_f16_e32 v46, 0x3aee, v65
	v_pack_b32_f16 v19, v20, v51
	v_pack_b32_f16 v4, v4, v22
	;; [unrolled: 1-line block ×4, first 2 shown]
	ds_store_2addr_b32 v49, v9, v5 offset1:7
	ds_store_b32 v49, v19 offset:56
	ds_store_2addr_b32 v50, v4, v20 offset1:7
	ds_store_b32 v50, v21 offset:56
	s_and_saveexec_b32 s0, vcc_lo
	s_cbranch_execz .LBB0_5
; %bb.4:
	v_and_b32_e32 v4, 0xffff, v47
	v_perm_b32 v5, v12, v2, 0x5040100
	v_perm_b32 v9, v63, v3, 0x5040100
	;; [unrolled: 1-line block ×3, first 2 shown]
	s_delay_alu instid0(VALU_DEP_4) | instskip(NEXT) | instid1(VALU_DEP_1)
	v_mul_u32_u24_e32 v4, 21, v4
	v_add_nc_u32_e32 v4, v4, v48
	s_delay_alu instid0(VALU_DEP_1)
	v_lshl_add_u32 v4, v4, 2, v45
	ds_store_2addr_b32 v4, v5, v9 offset1:7
	ds_store_b32 v4, v19 offset:56
.LBB0_5:
	s_wait_alu 0xfffe
	s_or_b32 exec_lo, exec_lo, s0
	v_add_nc_u32_e32 v4, 0x400, v32
	global_wb scope:SCOPE_SE
	s_wait_dscnt 0x0
	s_barrier_signal -1
	s_barrier_wait -1
	global_inv scope:SCOPE_SE
	ds_load_2addr_b32 v[19:20], v32 offset1:147
	ds_load_2addr_b32 v[21:22], v4 offset0:38 offset1:185
	v_add_co_u32 v23, s0, s8, v25
	s_wait_alu 0xf1ff
	v_add_co_ci_u32_e64 v24, null, s9, 0, s0
	v_cmp_gt_u16_e64 s0, 63, v37
	s_delay_alu instid0(VALU_DEP_1)
	s_and_saveexec_b32 s1, s0
	s_cbranch_execz .LBB0_7
; %bb.6:
	v_add_nc_u32_e32 v2, 0x500, v32
	ds_load_2addr_b32 v[0:1], v32 offset0:84 offset1:231
	ds_load_2addr_b32 v[2:3], v2 offset0:58 offset1:205
	s_wait_dscnt 0x1
	v_lshrrev_b32_e32 v28, 16, v0
	v_lshrrev_b32_e32 v27, 16, v1
	s_wait_dscnt 0x0
	v_lshrrev_b32_e32 v12, 16, v2
	v_lshrrev_b32_e32 v63, 16, v3
.LBB0_7:
	s_wait_alu 0xfffe
	s_or_b32 exec_lo, exec_lo, s1
	v_mul_lo_u16 v4, 0x87, v7
	v_mul_lo_u16 v5, 0x87, v8
	s_wait_dscnt 0x1
	v_lshrrev_b32_e32 v66, 16, v20
	s_wait_dscnt 0x0
	v_lshrrev_b32_e32 v67, 16, v21
	v_lshrrev_b32_e32 v68, 16, v22
	v_lshrrev_b16 v4, 8, v4
	v_lshrrev_b16 v5, 8, v5
	v_lshrrev_b32_e32 v65, 16, v19
	s_delay_alu instid0(VALU_DEP_3) | instskip(NEXT) | instid1(VALU_DEP_3)
	v_sub_nc_u16 v7, v37, v4
	v_sub_nc_u16 v8, v6, v5
	s_delay_alu instid0(VALU_DEP_2) | instskip(NEXT) | instid1(VALU_DEP_2)
	v_lshrrev_b16 v7, 1, v7
	v_lshrrev_b16 v8, 1, v8
	s_delay_alu instid0(VALU_DEP_2) | instskip(NEXT) | instid1(VALU_DEP_2)
	v_and_b32_e32 v7, 0x7f, v7
	v_and_b32_e32 v8, 0x7f, v8
	s_delay_alu instid0(VALU_DEP_2) | instskip(NEXT) | instid1(VALU_DEP_2)
	v_add_nc_u16 v4, v7, v4
	v_add_nc_u16 v5, v8, v5
	s_delay_alu instid0(VALU_DEP_2) | instskip(NEXT) | instid1(VALU_DEP_2)
	v_lshrrev_b16 v4, 4, v4
	v_lshrrev_b16 v5, 4, v5
	s_delay_alu instid0(VALU_DEP_2) | instskip(NEXT) | instid1(VALU_DEP_2)
	v_and_b32_e32 v52, 15, v4
	v_and_b32_e32 v58, 15, v5
	s_delay_alu instid0(VALU_DEP_2) | instskip(NEXT) | instid1(VALU_DEP_2)
	v_mul_lo_u16 v4, v52, 21
	v_mul_lo_u16 v5, v58, 21
	v_and_b32_e32 v52, 0xffff, v52
	s_delay_alu instid0(VALU_DEP_3) | instskip(NEXT) | instid1(VALU_DEP_3)
	v_sub_nc_u16 v4, v37, v4
	v_sub_nc_u16 v5, v6, v5
	s_delay_alu instid0(VALU_DEP_3) | instskip(NEXT) | instid1(VALU_DEP_3)
	v_mul_u32_u24_e32 v52, 0x54, v52
	v_and_b32_e32 v62, 0xff, v4
	s_delay_alu instid0(VALU_DEP_3) | instskip(NEXT) | instid1(VALU_DEP_2)
	v_and_b32_e32 v51, 0xff, v5
	v_mad_co_u64_u32 v[4:5], null, v62, 12, s[10:11]
	s_delay_alu instid0(VALU_DEP_2)
	v_mad_co_u64_u32 v[55:56], null, v51, 12, s[10:11]
	s_clause 0x1
	global_load_b96 v[7:9], v[4:5], off offset:56
	global_load_b96 v[4:6], v[55:56], off offset:56
	v_add_nc_u32_e32 v55, v52, v62
	v_and_b32_e32 v52, 0xffff, v58
	global_wb scope:SCOPE_SE
	s_wait_loadcnt 0x0
	s_barrier_signal -1
	s_barrier_wait -1
	v_lshl_add_u32 v62, v55, 2, v45
	global_inv scope:SCOPE_SE
	v_lshrrev_b32_e32 v71, 16, v7
	v_lshrrev_b32_e32 v69, 16, v8
	;; [unrolled: 1-line block ×5, first 2 shown]
	v_mul_f16_e32 v72, v66, v71
	v_mul_f16_e32 v73, v20, v71
	v_mul_f16_e32 v74, v67, v69
	v_mul_f16_e32 v75, v21, v69
	v_mul_f16_e32 v76, v68, v70
	v_mul_f16_e32 v77, v22, v70
	v_mul_f16_e32 v64, v1, v56
	v_mul_f16_e32 v82, v3, v55
	v_fma_f16 v20, v20, v7, -v72
	v_fmac_f16_e32 v73, v66, v7
	v_fma_f16 v21, v21, v8, -v74
	v_fmac_f16_e32 v75, v67, v8
	;; [unrolled: 2-line block ×3, first 2 shown]
	v_lshrrev_b32_e32 v58, 16, v5
	v_mul_f16_e32 v78, v27, v56
	v_mul_f16_e32 v81, v63, v55
	v_fmac_f16_e32 v64, v27, v4
	v_fmac_f16_e32 v82, v63, v6
	v_sub_f16_e32 v21, v19, v21
	v_sub_f16_e32 v27, v65, v75
	;; [unrolled: 1-line block ×4, first 2 shown]
	v_mul_f16_e32 v79, v12, v58
	v_mul_f16_e32 v80, v2, v58
	v_fma_f16 v66, v19, 2.0, -v21
	v_fma_f16 v65, v65, 2.0, -v27
	v_fma_f16 v19, v20, 2.0, -v22
	v_fma_f16 v20, v73, 2.0, -v63
	v_fma_f16 v1, v1, v4, -v78
	v_fma_f16 v2, v2, v5, -v79
	v_fmac_f16_e32 v80, v12, v5
	v_fma_f16 v12, v3, v6, -v81
	v_sub_f16_e32 v63, v21, v63
	v_add_f16_e32 v67, v27, v22
	v_sub_f16_e32 v68, v66, v19
	v_sub_f16_e32 v72, v65, v20
	;; [unrolled: 1-line block ×5, first 2 shown]
	v_fma_f16 v21, v21, 2.0, -v63
	v_fma_f16 v27, v27, 2.0, -v67
	;; [unrolled: 1-line block ×4, first 2 shown]
	v_sub_f16_e32 v20, v1, v12
	v_sub_f16_e32 v22, v2, v19
	v_pack_b32_f16 v21, v21, v27
	v_pack_b32_f16 v63, v63, v67
	v_pack_b32_f16 v27, v66, v65
	v_add_f16_e32 v12, v3, v20
	v_pack_b32_f16 v65, v68, v72
	ds_store_2addr_b32 v62, v27, v21 offset1:21
	ds_store_2addr_b32 v62, v65, v63 offset0:42 offset1:63
	s_and_saveexec_b32 s1, s0
	s_cbranch_execz .LBB0_9
; %bb.8:
	v_fma_f16 v0, v0, 2.0, -v2
	v_fma_f16 v1, v1, 2.0, -v20
	;; [unrolled: 1-line block ×4, first 2 shown]
	v_mul_u32_u24_e32 v21, 0x54, v52
	v_fma_f16 v2, v2, 2.0, -v22
	v_sub_f16_e32 v1, v0, v1
	v_fma_f16 v3, v3, 2.0, -v12
	v_sub_f16_e32 v19, v20, v19
	v_add_nc_u32_e32 v21, v21, v51
	v_perm_b32 v27, v12, v22, 0x5040100
	v_fma_f16 v0, v0, 2.0, -v1
	v_pack_b32_f16 v2, v2, v3
	v_fma_f16 v20, v20, 2.0, -v19
	v_lshl_add_u32 v3, v21, 2, v45
	v_pack_b32_f16 v1, v1, v19
	s_delay_alu instid0(VALU_DEP_3)
	v_pack_b32_f16 v0, v0, v20
	ds_store_2addr_b32 v3, v0, v2 offset1:21
	ds_store_2addr_b32 v3, v1, v27 offset0:42 offset1:63
.LBB0_9:
	s_wait_alu 0xfffe
	s_or_b32 exec_lo, exec_lo, s1
	v_mad_co_u64_u32 v[19:20], null, v37, 24, s[10:11]
	global_wb scope:SCOPE_SE
	s_wait_dscnt 0x0
	s_barrier_signal -1
	s_barrier_wait -1
	global_inv scope:SCOPE_SE
	v_add_nc_u32_e32 v76, 0x400, v32
	s_add_nc_u64 s[2:3], s[8:9], 0x930
	s_clause 0x1
	global_load_b128 v[0:3], v[19:20], off offset:308
	global_load_b64 v[19:20], v[19:20], off offset:324
	ds_load_2addr_b32 v[27:28], v32 offset1:84
	ds_load_2addr_b32 v[72:73], v32 offset0:168 offset1:252
	ds_load_b32 v21, v32 offset:2016
	ds_load_2addr_b32 v[74:75], v76 offset0:80 offset1:164
	s_wait_dscnt 0x2
	v_lshrrev_b32_e32 v79, 16, v72
	v_lshrrev_b32_e32 v78, 16, v28
	s_wait_dscnt 0x1
	v_lshrrev_b32_e32 v81, 16, v21
	s_wait_dscnt 0x0
	v_lshrrev_b32_e32 v83, 16, v75
	v_lshrrev_b32_e32 v80, 16, v73
	;; [unrolled: 1-line block ×4, first 2 shown]
	s_wait_loadcnt 0x1
	v_lshrrev_b32_e32 v68, 16, v0
	v_lshrrev_b32_e32 v67, 16, v1
	s_wait_loadcnt 0x0
	v_lshrrev_b32_e32 v63, 16, v19
	v_lshrrev_b32_e32 v65, 16, v20
	;; [unrolled: 1-line block ×4, first 2 shown]
	v_mul_f16_e32 v84, v78, v68
	v_mul_f16_e32 v85, v28, v68
	;; [unrolled: 1-line block ×12, first 2 shown]
	v_fma_f16 v28, v28, v0, -v84
	v_fmac_f16_e32 v85, v78, v0
	v_fma_f16 v72, v72, v1, -v86
	v_fmac_f16_e32 v87, v79, v1
	;; [unrolled: 2-line block ×6, first 2 shown]
	v_add_f16_e32 v78, v28, v21
	v_add_f16_e32 v79, v85, v95
	;; [unrolled: 1-line block ×4, first 2 shown]
	v_sub_f16_e32 v21, v28, v21
	v_sub_f16_e32 v28, v85, v95
	;; [unrolled: 1-line block ×4, first 2 shown]
	v_add_f16_e32 v82, v73, v74
	v_add_f16_e32 v83, v89, v91
	v_sub_f16_e32 v73, v74, v73
	v_sub_f16_e32 v74, v91, v89
	v_add_f16_e32 v84, v80, v78
	v_add_f16_e32 v85, v81, v79
	v_sub_f16_e32 v86, v80, v78
	v_sub_f16_e32 v87, v81, v79
	;; [unrolled: 1-line block ×6, first 2 shown]
	v_add_f16_e32 v88, v73, v72
	v_add_f16_e32 v89, v74, v75
	v_sub_f16_e32 v90, v73, v72
	v_sub_f16_e32 v91, v74, v75
	;; [unrolled: 1-line block ×4, first 2 shown]
	v_add_f16_e32 v82, v82, v84
	v_add_f16_e32 v83, v83, v85
	v_sub_f16_e32 v73, v21, v73
	v_sub_f16_e32 v74, v28, v74
	v_add_f16_e32 v21, v88, v21
	v_add_f16_e32 v28, v89, v28
	v_mul_f16_e32 v78, 0x3a52, v78
	v_mul_f16_e32 v79, 0x3a52, v79
	;; [unrolled: 1-line block ×8, first 2 shown]
	v_add_f16_e32 v27, v27, v82
	v_add_f16_e32 v77, v77, v83
	v_fmamk_f16 v80, v80, 0x2b26, v78
	v_fmamk_f16 v81, v81, 0x2b26, v79
	v_fma_f16 v84, v86, 0x39e0, -v84
	v_fma_f16 v85, v87, 0x39e0, -v85
	;; [unrolled: 1-line block ×4, first 2 shown]
	v_fmamk_f16 v86, v73, 0x3574, v88
	v_fmamk_f16 v87, v74, 0x3574, v89
	v_fma_f16 v72, v72, 0x3b00, -v88
	v_fma_f16 v75, v75, 0x3b00, -v89
	v_fmac_f16_e32 v90, 0xb574, v73
	v_fmac_f16_e32 v91, 0xb574, v74
	v_fmamk_f16 v73, v82, 0xbcab, v27
	v_fmamk_f16 v74, v83, 0xbcab, v77
	v_fmac_f16_e32 v86, 0x370e, v21
	v_fmac_f16_e32 v87, 0x370e, v28
	;; [unrolled: 1-line block ×6, first 2 shown]
	v_pack_b32_f16 v21, v27, v77
	v_add_f16_e32 v27, v80, v73
	v_add_f16_e32 v28, v81, v74
	;; [unrolled: 1-line block ×7, first 2 shown]
	v_sub_f16_e32 v80, v28, v86
	v_add_f16_e32 v81, v91, v73
	v_sub_f16_e32 v82, v78, v90
	v_sub_f16_e32 v83, v77, v75
	v_add_f16_e32 v84, v72, v74
	v_add_f16_e32 v75, v75, v77
	v_sub_f16_e32 v72, v74, v72
	v_sub_f16_e32 v73, v73, v91
	v_add_f16_e32 v74, v90, v78
	v_sub_f16_e32 v27, v27, v87
	v_add_f16_e32 v28, v86, v28
	v_pack_b32_f16 v77, v79, v80
	v_pack_b32_f16 v78, v81, v82
	;; [unrolled: 1-line block ×6, first 2 shown]
	ds_store_2addr_b32 v32, v21, v77 offset1:84
	ds_store_2addr_b32 v32, v78, v79 offset0:168 offset1:252
	ds_store_2addr_b32 v76, v72, v73 offset0:80 offset1:164
	ds_store_b32 v32, v27 offset:2016
	global_wb scope:SCOPE_SE
	s_wait_dscnt 0x0
	s_barrier_signal -1
	s_barrier_wait -1
	global_inv scope:SCOPE_SE
	s_clause 0x6
	global_load_b32 v21, v[23:24], off offset:2352
	global_load_b32 v74, v25, s[2:3] offset:336
	global_load_b32 v75, v25, s[2:3] offset:672
	;; [unrolled: 1-line block ×6, first 2 shown]
	ds_load_2addr_b32 v[23:24], v32 offset1:84
	ds_load_2addr_b32 v[27:28], v32 offset0:168 offset1:252
	ds_load_2addr_b32 v[72:73], v76 offset0:80 offset1:164
	ds_load_b32 v80, v32 offset:2016
	s_wait_dscnt 0x3
	v_lshrrev_b32_e32 v81, 16, v23
	v_lshrrev_b32_e32 v82, 16, v24
	s_wait_dscnt 0x2
	v_lshrrev_b32_e32 v83, 16, v27
	v_lshrrev_b32_e32 v84, 16, v28
	;; [unrolled: 3-line block ×3, first 2 shown]
	s_wait_dscnt 0x0
	v_lshrrev_b32_e32 v87, 16, v80
	s_wait_loadcnt 0x6
	v_lshrrev_b32_e32 v88, 16, v21
	s_wait_loadcnt 0x5
	;; [unrolled: 2-line block ×7, first 2 shown]
	v_lshrrev_b32_e32 v94, 16, v25
	v_mul_f16_e32 v95, v81, v88
	v_mul_f16_e32 v88, v23, v88
	;; [unrolled: 1-line block ×14, first 2 shown]
	v_fma_f16 v23, v23, v21, -v95
	v_fmac_f16_e32 v88, v81, v21
	v_fma_f16 v21, v24, v74, -v96
	v_fmac_f16_e32 v89, v82, v74
	;; [unrolled: 2-line block ×7, first 2 shown]
	v_pack_b32_f16 v23, v23, v88
	v_pack_b32_f16 v21, v21, v89
	;; [unrolled: 1-line block ×7, first 2 shown]
	ds_store_2addr_b32 v32, v23, v21 offset1:84
	ds_store_2addr_b32 v32, v24, v25 offset0:168 offset1:252
	ds_store_2addr_b32 v76, v27, v28 offset0:80 offset1:164
	ds_store_b32 v32, v72 offset:2016
	global_wb scope:SCOPE_SE
	s_wait_dscnt 0x0
	s_barrier_signal -1
	s_barrier_wait -1
	global_inv scope:SCOPE_SE
	ds_load_2addr_b32 v[23:24], v32 offset1:84
	ds_load_2addr_b32 v[27:28], v32 offset0:168 offset1:252
	ds_load_b32 v21, v32 offset:2016
	ds_load_2addr_b32 v[73:74], v76 offset0:80 offset1:164
	v_add_nc_u32_e32 v72, 0x200, v32
	global_wb scope:SCOPE_SE
	s_wait_dscnt 0x0
	s_barrier_signal -1
	s_barrier_wait -1
	global_inv scope:SCOPE_SE
	v_pk_add_f16 v25, v24, v21
	v_pk_add_f16 v75, v27, v74
	v_pk_add_f16 v77, v28, v73
	v_pk_add_f16 v27, v27, v74 neg_lo:[0,1] neg_hi:[0,1]
	v_pk_add_f16 v28, v73, v28 neg_lo:[0,1] neg_hi:[0,1]
	;; [unrolled: 1-line block ×3, first 2 shown]
	v_pk_add_f16 v24, v75, v25
	v_pk_add_f16 v73, v75, v25 neg_lo:[0,1] neg_hi:[0,1]
	v_pk_add_f16 v25, v25, v77 neg_lo:[0,1] neg_hi:[0,1]
	v_pk_add_f16 v74, v28, v27
	v_pk_add_f16 v78, v21, v28 neg_lo:[0,1] neg_hi:[0,1]
	v_pk_add_f16 v79, v27, v21 neg_lo:[0,1] neg_hi:[0,1]
	;; [unrolled: 3-line block ×3, first 2 shown]
	v_pk_mul_f16 v25, 0x3a52, v25 op_sel_hi:[0,1]
	v_pk_mul_f16 v28, 0x39e0, v73 op_sel_hi:[0,1]
	;; [unrolled: 1-line block ×3, first 2 shown]
	v_pk_add_f16 v21, v74, v21
	v_pk_add_f16 v23, v23, v24
	v_pk_mul_f16 v74, 0xb574, v78 op_sel_hi:[0,1]
	v_pk_add_f16 v77, v25, v28 op_sel:[1,1] op_sel_hi:[0,0] neg_lo:[1,1] neg_hi:[1,1]
	v_pk_fma_f16 v78, 0xb574, v78, v73 op_sel_hi:[0,1,1] neg_lo:[0,1,1] neg_hi:[0,1,1]
	v_pk_fma_f16 v28, 0x2b26, v75, v28 op_sel_hi:[0,1,1] neg_lo:[0,1,0] neg_hi:[0,1,0]
	v_pk_fma_f16 v24, 0xbcab, v24, v23 op_sel_hi:[0,1,1]
	v_pk_fma_f16 v73, 0x3846, v27, v73 op_sel_hi:[0,1,1] neg_lo:[0,1,0] neg_hi:[0,1,0]
	v_pk_fma_f16 v25, 0x2b26, v75, v25 op_sel_hi:[0,1,1]
	v_pk_fma_f16 v27, 0x3846, v27, v74 op_sel_hi:[0,1,1]
	;; [unrolled: 1-line block ×3, first 2 shown]
	v_pk_add_f16 v75, v77, v24 op_sel:[0,1] op_sel_hi:[1,0]
	v_pk_fma_f16 v73, 0xb70e, v21, v73 op_sel_hi:[0,1,1]
	v_pk_add_f16 v28, v28, v24
	v_pk_fma_f16 v21, 0xb70e, v21, v27 op_sel_hi:[0,1,1]
	v_pk_add_f16 v24, v25, v24
	v_pk_add_f16 v25, v75, v74
	v_pk_add_f16 v27, v75, v74 neg_lo:[0,1] neg_hi:[0,1]
	v_pk_add_f16 v74, v28, v73 op_sel:[0,1] op_sel_hi:[1,0] neg_lo:[0,1] neg_hi:[0,1]
	v_pk_add_f16 v28, v28, v73 op_sel:[0,1] op_sel_hi:[1,0]
	v_pk_add_f16 v73, v24, v21 op_sel:[0,1] op_sel_hi:[1,0]
	v_pk_add_f16 v21, v24, v21 op_sel:[0,1] op_sel_hi:[1,0] neg_lo:[0,1] neg_hi:[0,1]
	v_alignbit_b32 v24, v27, v25, 16
	v_alignbit_b32 v25, v25, v27, 16
	v_bfi_b32 v75, 0xffff, v74, v28
	v_bfi_b32 v28, 0xffff, v28, v74
	;; [unrolled: 1-line block ×4, first 2 shown]
	ds_store_2addr_b32 v26, v23, v77 offset1:1
	ds_store_2addr_b32 v26, v24, v75 offset0:2 offset1:3
	ds_store_2addr_b32 v26, v28, v25 offset0:4 offset1:5
	ds_store_b32 v26, v27 offset:24
	global_wb scope:SCOPE_SE
	s_wait_dscnt 0x0
	s_barrier_signal -1
	s_barrier_wait -1
	global_inv scope:SCOPE_SE
	ds_load_2addr_b32 v[23:24], v32 offset1:84
	ds_load_2addr_b32 v[27:28], v72 offset0:68 offset1:152
	ds_load_2addr_b32 v[25:26], v76 offset0:136 offset1:220
	v_lshrrev_b32_e32 v73, 16, v73
	s_and_saveexec_b32 s1, vcc_lo
	s_cbranch_execz .LBB0_11
; %bb.10:
	ds_load_2addr_b32 v[21:22], v72 offset0:40 offset1:236
	ds_load_b32 v11, v32 offset:2240
	s_wait_dscnt 0x1
	v_lshrrev_b32_e32 v73, 16, v21
	v_lshrrev_b32_e32 v12, 16, v22
	s_wait_dscnt 0x0
	v_lshrrev_b32_e32 v46, 16, v11
.LBB0_11:
	s_wait_alu 0xfffe
	s_or_b32 exec_lo, exec_lo, s1
	s_wait_dscnt 0x1
	v_lshrrev_b32_e32 v74, 16, v27
	s_wait_dscnt 0x0
	v_lshrrev_b32_e32 v76, 16, v25
	v_lshrrev_b32_e32 v77, 16, v28
	;; [unrolled: 1-line block ×4, first 2 shown]
	v_mul_f16_e32 v78, v61, v74
	v_mul_f16_e32 v61, v61, v27
	;; [unrolled: 1-line block ×4, first 2 shown]
	v_lshrrev_b32_e32 v72, 16, v24
	v_fmac_f16_e32 v78, v17, v27
	v_mul_f16_e32 v27, v59, v77
	v_fmac_f16_e32 v80, v18, v25
	v_mul_f16_e32 v25, v59, v28
	v_mul_f16_e32 v59, v57, v79
	v_fma_f16 v17, v17, v74, -v61
	v_fmac_f16_e32 v27, v15, v28
	v_mul_f16_e32 v28, v57, v26
	v_fma_f16 v15, v15, v77, -v25
	v_mul_f16_e32 v25, v54, v12
	v_fmac_f16_e32 v59, v16, v26
	v_fma_f16 v18, v18, v76, -v60
	v_fma_f16 v16, v16, v79, -v28
	v_mul_f16_e32 v28, v53, v46
	v_mul_f16_e32 v26, v54, v22
	v_fmac_f16_e32 v25, v13, v22
	v_mul_f16_e32 v22, v53, v11
	global_wb scope:SCOPE_SE
	v_fmac_f16_e32 v28, v14, v11
	v_add_f16_e32 v11, v23, v78
	v_fma_f16 v12, v13, v12, -v26
	v_add_f16_e32 v13, v78, v80
	v_fma_f16 v22, v14, v46, -v22
	v_add_f16_e32 v14, v17, v18
	v_add_f16_e32 v46, v11, v80
	;; [unrolled: 1-line block ×3, first 2 shown]
	v_fma_f16 v26, -0.5, v13, v23
	v_sub_f16_e32 v13, v17, v18
	v_fmac_f16_e32 v75, -0.5, v14
	v_sub_f16_e32 v14, v78, v80
	v_add_f16_e32 v54, v11, v18
	v_add_f16_e32 v11, v27, v59
	v_fmamk_f16 v53, v13, 0xbaee, v26
	v_fmac_f16_e32 v26, 0x3aee, v13
	v_fmamk_f16 v57, v14, 0x3aee, v75
	v_add_f16_e32 v13, v24, v27
	v_fmac_f16_e32 v75, 0xbaee, v14
	v_add_f16_e32 v14, v15, v16
	v_fmac_f16_e32 v24, -0.5, v11
	v_sub_f16_e32 v11, v15, v16
	v_add_f16_e32 v60, v13, v59
	v_add_f16_e32 v13, v72, v15
	v_fmac_f16_e32 v72, -0.5, v14
	v_add_f16_e32 v14, v22, v12
	v_fmamk_f16 v23, v11, 0xbaee, v24
	v_fmac_f16_e32 v24, 0x3aee, v11
	v_add_f16_e32 v11, v28, v25
	v_sub_f16_e32 v15, v27, v59
	v_add_f16_e32 v16, v13, v16
	v_add_f16_e32 v18, v21, v25
	v_sub_f16_e32 v13, v12, v22
	v_fmac_f16_e32 v21, -0.5, v11
	v_add_f16_e32 v27, v12, v73
	v_fmac_f16_e32 v73, -0.5, v14
	v_sub_f16_e32 v14, v25, v28
	v_fmamk_f16 v17, v15, 0x3aee, v72
	v_fmac_f16_e32 v72, 0xbaee, v15
	v_add_f16_e32 v11, v28, v18
	v_fmamk_f16 v12, v13, 0xbaee, v21
	v_add_f16_e32 v18, v22, v27
	v_fmamk_f16 v22, v14, 0x3aee, v73
	v_pack_b32_f16 v15, v46, v54
	v_pack_b32_f16 v25, v53, v57
	;; [unrolled: 1-line block ×6, first 2 shown]
	s_barrier_signal -1
	s_barrier_wait -1
	global_inv scope:SCOPE_SE
	ds_store_2addr_b32 v49, v15, v25 offset1:7
	ds_store_b32 v49, v26 offset:56
	ds_store_2addr_b32 v50, v16, v27 offset1:7
	ds_store_b32 v50, v28 offset:56
	s_and_saveexec_b32 s1, vcc_lo
	s_cbranch_execz .LBB0_13
; %bb.12:
	v_and_b32_e32 v15, 0xffff, v47
	v_mul_f16_e32 v14, 0x3aee, v14
	v_mul_f16_e32 v13, 0x3aee, v13
	v_perm_b32 v16, v18, v11, 0x5040100
	s_delay_alu instid0(VALU_DEP_4) | instskip(NEXT) | instid1(VALU_DEP_4)
	v_mul_u32_u24_e32 v15, 21, v15
	v_sub_f16_e32 v14, v73, v14
	s_delay_alu instid0(VALU_DEP_4) | instskip(SKIP_1) | instid1(VALU_DEP_4)
	v_add_f16_e32 v13, v13, v21
	v_perm_b32 v21, v22, v12, 0x5040100
	v_add_nc_u32_e32 v15, v15, v48
	s_delay_alu instid0(VALU_DEP_3) | instskip(NEXT) | instid1(VALU_DEP_2)
	v_pack_b32_f16 v13, v13, v14
	v_lshl_add_u32 v15, v15, 2, v45
	ds_store_2addr_b32 v15, v16, v21 offset1:7
	ds_store_b32 v15, v13 offset:56
.LBB0_13:
	s_wait_alu 0xfffe
	s_or_b32 exec_lo, exec_lo, s1
	v_add_nc_u32_e32 v15, 0x400, v32
	global_wb scope:SCOPE_SE
	s_wait_dscnt 0x0
	s_barrier_signal -1
	s_barrier_wait -1
	global_inv scope:SCOPE_SE
	ds_load_2addr_b32 v[13:14], v32 offset1:147
	ds_load_2addr_b32 v[15:16], v15 offset0:38 offset1:185
	s_and_saveexec_b32 s1, s0
	s_cbranch_execz .LBB0_15
; %bb.14:
	v_add_nc_u32_e32 v11, 0x500, v32
	ds_load_2addr_b32 v[23:24], v32 offset0:84 offset1:231
	ds_load_2addr_b32 v[11:12], v11 offset0:58 offset1:205
	s_wait_dscnt 0x1
	v_lshrrev_b32_e32 v17, 16, v23
	v_lshrrev_b32_e32 v72, 16, v24
	s_wait_dscnt 0x0
	v_lshrrev_b32_e32 v18, 16, v11
	v_lshrrev_b32_e32 v22, 16, v12
.LBB0_15:
	s_wait_alu 0xfffe
	s_or_b32 exec_lo, exec_lo, s1
	s_wait_dscnt 0x1
	v_lshrrev_b32_e32 v21, 16, v14
	s_wait_dscnt 0x0
	v_lshrrev_b32_e32 v26, 16, v15
	v_mul_f16_e32 v27, v71, v14
	v_lshrrev_b32_e32 v28, 16, v16
	v_mul_f16_e32 v47, v69, v15
	v_mul_f16_e32 v46, v71, v21
	;; [unrolled: 1-line block ×3, first 2 shown]
	v_fma_f16 v21, v7, v21, -v27
	v_mul_f16_e32 v27, v69, v26
	v_mul_f16_e32 v49, v70, v28
	v_lshrrev_b32_e32 v25, 16, v13
	v_fma_f16 v26, v8, v26, -v47
	v_fma_f16 v28, v9, v28, -v48
	v_fmac_f16_e32 v46, v7, v14
	v_fmac_f16_e32 v27, v8, v15
	;; [unrolled: 1-line block ×3, first 2 shown]
	v_sub_f16_e32 v7, v25, v26
	v_sub_f16_e32 v8, v21, v28
	global_wb scope:SCOPE_SE
	v_sub_f16_e32 v9, v13, v27
	v_sub_f16_e32 v14, v46, v49
	v_fma_f16 v15, v25, 2.0, -v7
	v_fma_f16 v16, v21, 2.0, -v8
	s_barrier_signal -1
	v_fma_f16 v13, v13, 2.0, -v9
	v_fma_f16 v21, v46, 2.0, -v14
	v_add_f16_e32 v8, v9, v8
	v_sub_f16_e32 v16, v15, v16
	v_sub_f16_e32 v14, v7, v14
	s_barrier_wait -1
	v_sub_f16_e32 v21, v13, v21
	v_fma_f16 v9, v9, 2.0, -v8
	v_fma_f16 v15, v15, 2.0, -v16
	;; [unrolled: 1-line block ×3, first 2 shown]
	v_pack_b32_f16 v8, v8, v14
	v_fma_f16 v13, v13, 2.0, -v21
	global_inv scope:SCOPE_SE
	v_pack_b32_f16 v7, v9, v7
	v_pack_b32_f16 v9, v13, v15
	;; [unrolled: 1-line block ×3, first 2 shown]
	ds_store_2addr_b32 v62, v9, v7 offset1:21
	ds_store_2addr_b32 v62, v13, v8 offset0:42 offset1:63
	s_and_saveexec_b32 s1, s0
	s_cbranch_execz .LBB0_17
; %bb.16:
	v_mul_f16_e32 v7, v58, v18
	v_mul_f16_e32 v8, v56, v24
	;; [unrolled: 1-line block ×5, first 2 shown]
	v_fmac_f16_e32 v7, v5, v11
	v_mul_f16_e32 v11, v55, v12
	v_fma_f16 v8, v4, v72, -v8
	v_fmac_f16_e32 v13, v4, v24
	v_fmac_f16_e32 v14, v6, v12
	v_fma_f16 v4, v5, v18, -v9
	v_fma_f16 v5, v6, v22, -v11
	v_sub_f16_e32 v6, v23, v7
	s_delay_alu instid0(VALU_DEP_4) | instskip(NEXT) | instid1(VALU_DEP_4)
	v_sub_f16_e32 v7, v13, v14
	v_sub_f16_e32 v4, v17, v4
	s_delay_alu instid0(VALU_DEP_4) | instskip(NEXT) | instid1(VALU_DEP_4)
	v_sub_f16_e32 v5, v8, v5
	v_fma_f16 v9, v23, 2.0, -v6
	s_delay_alu instid0(VALU_DEP_4) | instskip(NEXT) | instid1(VALU_DEP_4)
	v_fma_f16 v11, v13, 2.0, -v7
	v_fma_f16 v12, v17, 2.0, -v4
	s_delay_alu instid0(VALU_DEP_4)
	v_fma_f16 v8, v8, 2.0, -v5
	v_add_f16_e32 v5, v6, v5
	v_mul_u32_u24_e32 v13, 0x54, v52
	v_sub_f16_e32 v11, v9, v11
	v_sub_f16_e32 v7, v4, v7
	;; [unrolled: 1-line block ×3, first 2 shown]
	v_fma_f16 v6, v6, 2.0, -v5
	v_add_nc_u32_e32 v13, v13, v51
	v_fma_f16 v9, v9, 2.0, -v11
	v_fma_f16 v4, v4, 2.0, -v7
	;; [unrolled: 1-line block ×3, first 2 shown]
	v_pack_b32_f16 v5, v5, v7
	v_lshl_add_u32 v13, v13, 2, v45
	s_delay_alu instid0(VALU_DEP_4) | instskip(NEXT) | instid1(VALU_DEP_4)
	v_pack_b32_f16 v4, v6, v4
	v_pack_b32_f16 v9, v9, v12
	;; [unrolled: 1-line block ×3, first 2 shown]
	ds_store_2addr_b32 v13, v9, v4 offset1:21
	ds_store_2addr_b32 v13, v6, v5 offset0:42 offset1:63
.LBB0_17:
	s_wait_alu 0xfffe
	s_or_b32 exec_lo, exec_lo, s1
	global_wb scope:SCOPE_SE
	s_wait_dscnt 0x0
	s_barrier_signal -1
	s_barrier_wait -1
	global_inv scope:SCOPE_SE
	ds_load_2addr_b32 v[5:6], v32 offset1:84
	ds_load_2addr_b32 v[7:8], v32 offset0:168 offset1:252
	v_add_nc_u32_e32 v4, 0x400, v32
	ds_load_b32 v9, v32 offset:2016
	ds_load_2addr_b32 v[11:12], v4 offset0:80 offset1:164
	s_mov_b32 s8, 0x899406f7
	s_mov_b32 s9, 0x3f5bdd2b
	s_wait_dscnt 0x3
	v_lshrrev_b32_e32 v14, 16, v6
	s_wait_dscnt 0x2
	v_lshrrev_b32_e32 v15, 16, v7
	v_mul_f16_e32 v18, v68, v6
	v_lshrrev_b32_e32 v16, 16, v8
	v_mul_f16_e32 v21, v67, v7
	s_wait_dscnt 0x1
	v_lshrrev_b32_e32 v17, 16, v9
	s_wait_dscnt 0x0
	v_lshrrev_b32_e32 v25, 16, v12
	v_mul_f16_e32 v26, v68, v14
	v_fma_f16 v14, v0, v14, -v18
	v_mul_f16_e32 v18, v67, v15
	v_mul_f16_e32 v22, v66, v8
	;; [unrolled: 1-line block ×3, first 2 shown]
	v_lshrrev_b32_e32 v24, 16, v11
	v_fma_f16 v15, v1, v15, -v21
	v_mul_f16_e32 v21, v66, v16
	v_mul_f16_e32 v27, v63, v12
	;; [unrolled: 1-line block ×3, first 2 shown]
	v_fmac_f16_e32 v18, v1, v7
	v_mul_f16_e32 v1, v63, v25
	v_fma_f16 v16, v2, v16, -v22
	v_mul_f16_e32 v22, v64, v11
	v_fmac_f16_e32 v26, v0, v6
	v_mul_f16_e32 v0, v64, v24
	v_fmac_f16_e32 v21, v2, v8
	v_fmac_f16_e32 v28, v20, v9
	v_fma_f16 v2, v20, v17, -v23
	v_fmac_f16_e32 v1, v19, v12
	v_fma_f16 v6, v19, v25, -v27
	;; [unrolled: 2-line block ×3, first 2 shown]
	v_add_f16_e32 v7, v26, v28
	v_add_f16_e32 v8, v14, v2
	;; [unrolled: 1-line block ×4, first 2 shown]
	v_sub_f16_e32 v2, v14, v2
	v_sub_f16_e32 v1, v18, v1
	;; [unrolled: 1-line block ×3, first 2 shown]
	v_add_f16_e32 v14, v21, v0
	v_add_f16_e32 v15, v16, v3
	v_sub_f16_e32 v0, v0, v21
	v_sub_f16_e32 v3, v3, v16
	v_add_f16_e32 v16, v11, v7
	v_add_f16_e32 v17, v12, v8
	v_sub_f16_e32 v9, v26, v28
	v_lshrrev_b32_e32 v13, 16, v5
	v_sub_f16_e32 v18, v11, v7
	v_sub_f16_e32 v19, v12, v8
	;; [unrolled: 1-line block ×6, first 2 shown]
	v_add_f16_e32 v20, v0, v1
	v_add_f16_e32 v21, v3, v6
	v_sub_f16_e32 v22, v0, v1
	v_sub_f16_e32 v23, v3, v6
	v_add_f16_e32 v14, v14, v16
	v_add_f16_e32 v15, v15, v17
	v_sub_f16_e32 v1, v1, v9
	v_sub_f16_e32 v6, v6, v2
	;; [unrolled: 1-line block ×4, first 2 shown]
	v_add_f16_e32 v9, v20, v9
	v_add_f16_e32 v2, v21, v2
	;; [unrolled: 1-line block ×4, first 2 shown]
	v_mul_f16_e32 v7, 0x3a52, v7
	v_mul_f16_e32 v8, 0x3a52, v8
	;; [unrolled: 1-line block ×8, first 2 shown]
	v_fmamk_f16 v14, v14, 0xbcab, v5
	v_fmamk_f16 v15, v15, 0xbcab, v13
	;; [unrolled: 1-line block ×4, first 2 shown]
	v_fma_f16 v16, v18, 0x39e0, -v16
	v_fma_f16 v17, v19, 0x39e0, -v17
	;; [unrolled: 1-line block ×4, first 2 shown]
	v_fmamk_f16 v18, v0, 0xb574, v20
	v_fmamk_f16 v19, v3, 0xb574, v21
	v_fma_f16 v1, v1, 0xbb00, -v20
	v_fma_f16 v6, v6, 0xbb00, -v21
	;; [unrolled: 1-line block ×4, first 2 shown]
	v_add_f16_e32 v11, v11, v14
	v_add_f16_e32 v12, v12, v15
	v_fmac_f16_e32 v18, 0xb70e, v9
	v_fmac_f16_e32 v19, 0xb70e, v2
	v_add_f16_e32 v16, v16, v14
	v_add_f16_e32 v17, v17, v15
	;; [unrolled: 1-line block ×4, first 2 shown]
	v_fmac_f16_e32 v1, 0xb70e, v9
	v_fmac_f16_e32 v3, 0xb70e, v2
	v_fmac_f16_e32 v0, 0xb70e, v9
	v_fmac_f16_e32 v6, 0xb70e, v2
	v_add_f16_e32 v2, v19, v11
	v_sub_f16_e32 v9, v12, v18
	v_add_f16_e32 v14, v3, v7
	v_sub_f16_e32 v15, v8, v0
	v_sub_f16_e32 v20, v16, v6
	v_add_f16_e32 v21, v1, v17
	v_add_f16_e32 v6, v6, v16
	v_sub_f16_e32 v1, v17, v1
	v_sub_f16_e32 v3, v7, v3
	v_add_f16_e32 v0, v0, v8
	v_sub_f16_e32 v7, v11, v19
	v_add_f16_e32 v8, v18, v12
	v_pack_b32_f16 v5, v5, v13
	v_pack_b32_f16 v2, v2, v9
	;; [unrolled: 1-line block ×7, first 2 shown]
	ds_store_2addr_b32 v32, v5, v2 offset1:84
	ds_store_2addr_b32 v32, v9, v11 offset0:168 offset1:252
	ds_store_2addr_b32 v4, v1, v0 offset0:80 offset1:164
	ds_store_b32 v32, v3 offset:2016
	global_wb scope:SCOPE_SE
	s_wait_dscnt 0x0
	s_barrier_signal -1
	s_barrier_wait -1
	global_inv scope:SCOPE_SE
	ds_load_2addr_b32 v[0:1], v32 offset1:84
	v_mad_co_u64_u32 v[15:16], null, s6, v10, 0
	v_mad_co_u64_u32 v[17:18], null, s4, v37, 0
	s_wait_dscnt 0x0
	v_lshrrev_b32_e32 v2, 16, v0
	v_mul_f16_e32 v3, v44, v0
	v_lshrrev_b32_e32 v7, 16, v1
	v_mul_f16_e32 v5, v43, v1
	s_delay_alu instid0(VALU_DEP_4) | instskip(NEXT) | instid1(VALU_DEP_4)
	v_mul_f16_e32 v8, v44, v2
	v_fma_f16 v3, v41, v2, -v3
	s_delay_alu instid0(VALU_DEP_4) | instskip(NEXT) | instid1(VALU_DEP_4)
	v_mul_f16_e32 v9, v43, v7
	v_fma_f16 v5, v40, v7, -v5
	s_delay_alu instid0(VALU_DEP_4) | instskip(NEXT) | instid1(VALU_DEP_4)
	v_fmac_f16_e32 v8, v41, v0
	v_cvt_f32_f16_e32 v6, v3
	s_delay_alu instid0(VALU_DEP_4) | instskip(NEXT) | instid1(VALU_DEP_4)
	v_fmac_f16_e32 v9, v40, v1
	v_cvt_f32_f16_e32 v0, v5
	ds_load_2addr_b32 v[2:3], v32 offset0:168 offset1:252
	v_cvt_f32_f16_e32 v11, v8
	v_cvt_f64_f32_e32 v[5:6], v6
	v_cvt_f32_f16_e32 v9, v9
	v_cvt_f64_f32_e32 v[7:8], v0
	s_delay_alu instid0(VALU_DEP_4) | instskip(NEXT) | instid1(VALU_DEP_3)
	v_cvt_f64_f32_e32 v[0:1], v11
	v_cvt_f64_f32_e32 v[11:12], v9
	s_wait_dscnt 0x0
	v_lshrrev_b32_e32 v9, 16, v2
	v_mul_f16_e32 v19, v42, v2
	s_delay_alu instid0(VALU_DEP_2) | instskip(NEXT) | instid1(VALU_DEP_1)
	v_mul_f16_e32 v13, v42, v9
	v_fmac_f16_e32 v13, v39, v2
	s_delay_alu instid0(VALU_DEP_1) | instskip(SKIP_2) | instid1(VALU_DEP_2)
	v_cvt_f32_f16_e32 v13, v13
	s_wait_alu 0xfffe
	v_mul_f64_e32 v[5:6], s[8:9], v[5:6]
	v_cvt_f64_f32_e32 v[13:14], v13
	v_mul_f64_e32 v[7:8], s[8:9], v[7:8]
	v_mul_f64_e32 v[0:1], s[8:9], v[0:1]
	;; [unrolled: 1-line block ×3, first 2 shown]
	v_and_or_b32 v5, 0x1ff, v6, v5
	v_mul_f64_e32 v[13:14], s[8:9], v[13:14]
	v_bfe_u32 v20, v8, 20, 11
	v_and_or_b32 v0, 0x1ff, v1, v0
	s_delay_alu instid0(VALU_DEP_4)
	v_cmp_ne_u32_e32 vcc_lo, 0, v5
	v_bfe_u32 v25, v12, 20, 11
	v_mov_b32_e32 v2, v16
	v_fma_f16 v16, v39, v9, -v19
	v_lshrrev_b32_e32 v21, 8, v1
	s_wait_alu 0xfffd
	v_cndmask_b32_e64 v5, 0, 1, vcc_lo
	v_cmp_ne_u32_e32 vcc_lo, 0, v0
	v_bfe_u32 v22, v1, 20, 11
	v_mov_b32_e32 v9, v18
	v_sub_nc_u32_e32 v40, 0x3f1, v25
	v_add_nc_u32_e32 v25, 0xfffffc10, v25
	s_wait_alu 0xfffd
	v_cndmask_b32_e64 v0, 0, 1, vcc_lo
	v_mad_co_u64_u32 v[18:19], null, s7, v10, v[2:3]
	v_cvt_f32_f16_e32 v2, v16
	v_lshrrev_b32_e32 v10, 8, v6
	v_bfe_u32 v16, v6, 20, 11
	v_lshrrev_b32_e32 v19, 16, v6
	v_and_or_b32 v6, 0x1ff, v8, v7
	v_sub_nc_u32_e32 v26, 0x3f1, v22
	v_and_or_b32 v0, 0xffe, v21, v0
	v_sub_nc_u32_e32 v23, 0x3f1, v16
	v_and_or_b32 v11, 0x1ff, v12, v11
	v_cmp_ne_u32_e32 vcc_lo, 0, v6
	v_and_or_b32 v5, 0xffe, v10, v5
	v_med3_i32 v10, v26, 0, 13
	v_or_b32_e32 v21, 0x1000, v0
	v_med3_i32 v23, v23, 0, 13
	s_wait_alu 0xfffd
	v_cndmask_b32_e64 v6, 0, 1, vcc_lo
	v_or_b32_e32 v27, 0x1000, v5
	v_cmp_ne_u32_e32 vcc_lo, 0, v11
	v_lshrrev_b32_e32 v28, v10, v21
	v_add_nc_u32_e32 v16, 0xfffffc10, v16
	v_add_nc_u32_e32 v22, 0xfffffc10, v22
	v_lshrrev_b32_e32 v39, v23, v27
	s_wait_alu 0xfffd
	v_cndmask_b32_e64 v11, 0, 1, vcc_lo
	v_lshlrev_b32_e32 v10, v10, v28
	v_cmp_ne_u32_e32 vcc_lo, 0, v5
	v_lshl_or_b32 v41, v16, 12, v5
	v_lshlrev_b32_e32 v23, v23, v39
	v_lshrrev_b32_e32 v24, 8, v12
	v_lshrrev_b32_e32 v7, 8, v8
	s_wait_alu 0xfffd
	v_cndmask_b32_e64 v5, 0, 1, vcc_lo
	v_cmp_ne_u32_e32 vcc_lo, v10, v21
	v_lshrrev_b32_e32 v1, 16, v1
	v_and_or_b32 v11, 0xffe, v24, v11
	v_med3_i32 v24, v40, 0, 13
	v_lshl_or_b32 v5, v5, 9, 0x7c00
	s_wait_alu 0xfffd
	v_cndmask_b32_e64 v10, 0, 1, vcc_lo
	v_cmp_ne_u32_e32 vcc_lo, v23, v27
	v_lshl_or_b32 v23, v22, 12, v0
	v_or_b32_e32 v27, 0x1000, v11
	v_sub_nc_u32_e32 v26, 0x3f1, v20
	v_or_b32_e32 v10, v28, v10
	s_wait_alu 0xfffd
	v_cndmask_b32_e64 v21, 0, 1, vcc_lo
	v_cmp_gt_i32_e32 vcc_lo, 1, v22
	v_and_or_b32 v7, 0xffe, v7, v6
	v_lshrrev_b32_e32 v12, 16, v12
	s_delay_alu instid0(VALU_DEP_4)
	v_or_b32_e32 v21, v39, v21
	s_wait_alu 0xfffd
	v_cndmask_b32_e32 v10, v23, v10, vcc_lo
	v_cmp_ne_u32_e32 vcc_lo, 0, v0
	v_lshrrev_b32_e32 v23, v24, v27
	s_wait_alu 0xfffd
	v_cndmask_b32_e64 v0, 0, 1, vcc_lo
	v_cmp_gt_i32_e32 vcc_lo, 1, v16
	s_delay_alu instid0(VALU_DEP_3) | instskip(NEXT) | instid1(VALU_DEP_3)
	v_lshlrev_b32_e32 v24, v24, v23
	v_lshl_or_b32 v0, v0, 9, 0x7c00
	s_wait_alu 0xfffd
	v_cndmask_b32_e32 v21, v41, v21, vcc_lo
	s_delay_alu instid0(VALU_DEP_1) | instskip(SKIP_3) | instid1(VALU_DEP_4)
	v_and_b32_e32 v39, 7, v21
	v_and_b32_e32 v28, 7, v10
	v_lshrrev_b32_e32 v10, 2, v10
	v_lshrrev_b32_e32 v21, 2, v21
	v_cmp_lt_i32_e64 s1, 5, v39
	s_delay_alu instid0(VALU_DEP_4) | instskip(SKIP_2) | instid1(VALU_DEP_2)
	v_cmp_lt_i32_e32 vcc_lo, 5, v28
	v_cmp_eq_u32_e64 s0, 3, v28
	v_cmp_eq_u32_e64 s2, 3, v39
	s_or_b32 vcc_lo, s0, vcc_lo
	s_wait_alu 0xfffe
	v_add_co_ci_u32_e32 v10, vcc_lo, 0, v10, vcc_lo
	s_delay_alu instid0(VALU_DEP_2)
	s_or_b32 vcc_lo, s2, s1
	s_mul_u64 s[2:3], s[4:5], 0x150
	s_wait_alu 0xfffe
	v_add_co_ci_u32_e32 v21, vcc_lo, 0, v21, vcc_lo
	v_cmp_gt_i32_e32 vcc_lo, 31, v22
	s_wait_alu 0xfffd
	v_cndmask_b32_e32 v10, 0x7c00, v10, vcc_lo
	v_cmp_ne_u32_e32 vcc_lo, v24, v27
	s_wait_alu 0xfffd
	v_cndmask_b32_e64 v24, 0, 1, vcc_lo
	v_cmp_gt_i32_e32 vcc_lo, 31, v16
	s_wait_alu 0xfffd
	v_cndmask_b32_e32 v21, 0x7c00, v21, vcc_lo
	v_cmp_eq_u32_e32 vcc_lo, 0x40f, v22
	v_or_b32_e32 v22, 0x1000, v7
	s_wait_alu 0xfffd
	v_cndmask_b32_e32 v0, v10, v0, vcc_lo
	v_cmp_eq_u32_e32 vcc_lo, 0x40f, v16
	v_or_b32_e32 v10, v23, v24
	v_med3_i32 v23, v26, 0, 13
	s_wait_alu 0xfffd
	v_cndmask_b32_e32 v16, v21, v5, vcc_lo
	v_and_or_b32 v21, 0x8000, v1, v0
	v_cvt_f64_f32_e32 v[0:1], v2
	v_lshl_or_b32 v2, v25, 12, v11
	v_cmp_gt_i32_e32 vcc_lo, 1, v25
	v_mad_co_u64_u32 v[5:6], null, s5, v37, v[9:10]
	v_lshrrev_b32_e32 v9, v23, v22
	v_and_or_b32 v6, 0x8000, v19, v16
	s_wait_alu 0xfffd
	v_cndmask_b32_e32 v2, v2, v10, vcc_lo
	v_and_b32_e32 v10, 0xffff, v21
	v_dual_mov_b32 v16, v18 :: v_dual_lshlrev_b32 v21, v23, v9
	s_delay_alu instid0(VALU_DEP_3) | instskip(SKIP_1) | instid1(VALU_DEP_4)
	v_dual_mov_b32 v18, v5 :: v_dual_and_b32 v19, 7, v2
	v_lshrrev_b32_e32 v2, 2, v2
	v_lshl_or_b32 v23, v6, 16, v10
	s_delay_alu instid0(VALU_DEP_4)
	v_cmp_ne_u32_e64 s1, v21, v22
	v_lshlrev_b64_e32 v[5:6], 2, v[15:16]
	v_cmp_lt_i32_e32 vcc_lo, 5, v19
	v_cmp_eq_u32_e64 s0, 3, v19
	v_add_nc_u32_e32 v15, 0xfffffc10, v20
	s_wait_alu 0xf1ff
	v_cndmask_b32_e64 v10, 0, 1, s1
	v_lshrrev_b32_e32 v20, 8, v14
	v_add_co_u32 v16, s1, s12, v5
	s_or_b32 vcc_lo, s0, vcc_lo
	v_add_co_ci_u32_e64 v19, s1, s13, v6, s1
	s_wait_alu 0xfffe
	v_add_co_ci_u32_e32 v2, vcc_lo, 0, v2, vcc_lo
	v_cmp_ne_u32_e32 vcc_lo, 0, v11
	v_or_b32_e32 v5, v9, v10
	v_lshl_or_b32 v6, v15, 12, v7
	v_lshrrev_b32_e32 v10, 16, v3
	v_bfe_u32 v21, v14, 20, 11
	s_wait_alu 0xfffd
	v_cndmask_b32_e64 v9, 0, 1, vcc_lo
	v_cmp_gt_i32_e32 vcc_lo, 1, v15
	v_mul_f16_e32 v11, v38, v10
	v_mul_f64_e32 v[0:1], s[8:9], v[0:1]
	s_delay_alu instid0(VALU_DEP_4)
	v_lshl_or_b32 v9, v9, 9, 0x7c00
	s_wait_alu 0xfffd
	v_cndmask_b32_e32 v5, v6, v5, vcc_lo
	v_and_or_b32 v6, 0x1ff, v14, v13
	v_cmp_gt_i32_e32 vcc_lo, 31, v25
	v_fmac_f16_e32 v11, v36, v3
	v_lshrrev_b32_e32 v14, 16, v14
	s_wait_alu 0xfffd
	v_dual_cndmask_b32 v2, 0x7c00, v2 :: v_dual_and_b32 v13, 7, v5
	v_cmp_ne_u32_e32 vcc_lo, 0, v6
	s_delay_alu instid0(VALU_DEP_2)
	v_cmp_eq_u32_e64 s0, 3, v13
	s_wait_alu 0xfffd
	v_cndmask_b32_e64 v6, 0, 1, vcc_lo
	v_cmp_eq_u32_e32 vcc_lo, 0x40f, v25
	s_wait_alu 0xfffd
	v_cndmask_b32_e32 v2, v2, v9, vcc_lo
	v_cmp_lt_i32_e32 vcc_lo, 5, v13
	v_cvt_f32_f16_e32 v9, v11
	v_lshrrev_b32_e32 v13, 2, v5
	v_and_or_b32 v11, 0xffe, v20, v6
	v_sub_nc_u32_e32 v20, 0x3f1, v21
	s_or_b32 vcc_lo, s0, vcc_lo
	v_cvt_f64_f32_e32 v[5:6], v9
	s_wait_alu 0xfffe
	v_add_co_ci_u32_e32 v13, vcc_lo, 0, v13, vcc_lo
	v_or_b32_e32 v9, 0x1000, v11
	v_med3_i32 v20, v20, 0, 13
	v_cmp_ne_u32_e32 vcc_lo, 0, v7
	v_and_or_b32 v12, 0x8000, v12, v2
	v_mul_f16_e32 v2, v38, v3
	s_delay_alu instid0(VALU_DEP_4)
	v_lshrrev_b32_e32 v22, v20, v9
	s_wait_alu 0xfffd
	v_cndmask_b32_e64 v7, 0, 1, vcc_lo
	v_cmp_gt_i32_e32 vcc_lo, 31, v15
	v_and_or_b32 v0, 0x1ff, v1, v0
	v_fma_f16 v2, v36, v10, -v2
	v_lshlrev_b32_e32 v3, v20, v22
	v_lshl_or_b32 v7, v7, 9, 0x7c00
	s_wait_alu 0xfffd
	v_cndmask_b32_e32 v13, 0x7c00, v13, vcc_lo
	v_cmp_eq_u32_e32 vcc_lo, 0x40f, v15
	v_cvt_f32_f16_e32 v2, v2
	v_add_nc_u32_e32 v20, 0xfffffc10, v21
	v_bfe_u32 v21, v1, 20, 11
	v_lshrrev_b32_e32 v15, 16, v8
	s_wait_alu 0xfffd
	v_cndmask_b32_e32 v13, v13, v7, vcc_lo
	v_cmp_ne_u32_e32 vcc_lo, v3, v9
	v_lshrrev_b32_e32 v7, 8, v1
	v_lshl_or_b32 v10, v20, 12, v11
	v_and_b32_e32 v12, 0xffff, v12
	v_and_or_b32 v13, 0x8000, v15, v13
	s_wait_alu 0xfffd
	v_cndmask_b32_e64 v3, 0, 1, vcc_lo
	v_cmp_ne_u32_e32 vcc_lo, 0, v0
	s_delay_alu instid0(VALU_DEP_3) | instskip(NEXT) | instid1(VALU_DEP_3)
	v_lshl_or_b32 v13, v13, 16, v12
	v_or_b32_e32 v9, v22, v3
	s_wait_alu 0xfffd
	v_cndmask_b32_e64 v0, 0, 1, vcc_lo
	v_cvt_f64_f32_e32 v[2:3], v2
	v_sub_nc_u32_e32 v22, 0x3f1, v21
	v_cmp_gt_i32_e32 vcc_lo, 1, v20
	s_delay_alu instid0(VALU_DEP_4)
	v_and_or_b32 v0, 0xffe, v7, v0
	ds_load_2addr_b32 v[7:8], v4 offset0:80 offset1:164
	v_mul_f64_e32 v[4:5], s[8:9], v[5:6]
	v_med3_i32 v6, v22, 0, 13
	s_wait_alu 0xfffd
	v_cndmask_b32_e32 v24, v10, v9, vcc_lo
	v_or_b32_e32 v25, 0x1000, v0
	v_lshlrev_b64_e32 v[9:10], 2, v[17:18]
	s_delay_alu instid0(VALU_DEP_3) | instskip(NEXT) | instid1(VALU_DEP_3)
	v_and_b32_e32 v15, 7, v24
	v_lshrrev_b32_e32 v17, v6, v25
	v_lshrrev_b32_e32 v12, 2, v24
	s_delay_alu instid0(VALU_DEP_4)
	v_add_co_u32 v9, vcc_lo, v16, v9
	s_wait_alu 0xfffd
	v_add_co_ci_u32_e32 v10, vcc_lo, v19, v10, vcc_lo
	v_lshlrev_b32_e32 v6, v6, v17
	v_cmp_lt_i32_e32 vcc_lo, 5, v15
	v_cmp_eq_u32_e64 s0, 3, v15
	v_lshrrev_b32_e32 v24, 16, v1
	s_delay_alu instid0(VALU_DEP_4)
	v_cmp_ne_u32_e64 s1, v6, v25
	s_wait_dscnt 0x0
	v_lshrrev_b32_e32 v18, 16, v7
	s_or_b32 vcc_lo, s0, vcc_lo
	s_wait_alu 0xfffe
	v_add_co_ci_u32_e32 v12, vcc_lo, 0, v12, vcc_lo
	v_cndmask_b32_e64 v6, 0, 1, s1
	v_mul_f16_e32 v15, v35, v18
	v_cmp_ne_u32_e32 vcc_lo, 0, v11
	s_delay_alu instid0(VALU_DEP_3) | instskip(SKIP_1) | instid1(VALU_DEP_4)
	v_or_b32_e32 v6, v17, v6
	v_add_nc_u32_e32 v19, 0xfffffc10, v21
	v_fmac_f16_e32 v15, v34, v7
	s_wait_alu 0xfffd
	v_cndmask_b32_e64 v11, 0, 1, vcc_lo
	v_mul_f64_e32 v[2:3], s[8:9], v[2:3]
	v_mul_f16_e32 v7, v35, v7
	v_lshl_or_b32 v16, v19, 12, v0
	v_cmp_gt_i32_e32 vcc_lo, 1, v19
	v_cvt_f32_f16_e32 v15, v15
	v_lshl_or_b32 v21, v11, 9, 0x7c00
	v_and_or_b32 v4, 0x1ff, v5, v4
	v_fma_f16 v7, v34, v18, -v7
	s_wait_alu 0xfffd
	v_cndmask_b32_e32 v6, v16, v6, vcc_lo
	v_cmp_gt_i32_e32 vcc_lo, 31, v20
	v_cmp_ne_u32_e64 s0, 0, v4
	v_cvt_f32_f16_e32 v7, v7
	s_wait_alu 0xfffd
	v_dual_cndmask_b32 v17, 0x7c00, v12 :: v_dual_and_b32 v22, 7, v6
	v_cvt_f64_f32_e32 v[11:12], v15
	v_add_co_u32 v15, vcc_lo, v9, s2
	s_wait_alu 0xfffd
	v_add_co_ci_u32_e32 v16, vcc_lo, s3, v10, vcc_lo
	v_cmp_eq_u32_e32 vcc_lo, 0x40f, v20
	s_wait_alu 0xf1ff
	v_cndmask_b32_e64 v4, 0, 1, s0
	v_cmp_eq_u32_e64 s0, 3, v22
	v_lshrrev_b32_e32 v6, 2, v6
	v_lshrrev_b32_e32 v20, 8, v5
	s_wait_alu 0xfffd
	v_cndmask_b32_e32 v17, v17, v21, vcc_lo
	v_cmp_lt_i32_e32 vcc_lo, 5, v22
	v_bfe_u32 v21, v5, 20, 11
	s_clause 0x1
	global_store_b32 v[9:10], v23, off
	global_store_b32 v[15:16], v13, off
	v_and_or_b32 v4, 0xffe, v20, v4
	v_and_or_b32 v14, 0x8000, v14, v17
	s_or_b32 vcc_lo, s0, vcc_lo
	v_sub_nc_u32_e32 v20, 0x3f1, v21
	s_wait_alu 0xfffe
	v_add_co_ci_u32_e32 v6, vcc_lo, 0, v6, vcc_lo
	v_cmp_ne_u32_e32 vcc_lo, 0, v0
	v_or_b32_e32 v22, 0x1000, v4
	v_med3_i32 v20, v20, 0, 13
	v_and_or_b32 v2, 0x1ff, v3, v2
	v_bfe_u32 v25, v3, 20, 11
	s_wait_alu 0xfffd
	v_cndmask_b32_e64 v0, 0, 1, vcc_lo
	v_cmp_gt_i32_e32 vcc_lo, 31, v19
	v_lshrrev_b32_e32 v17, v20, v22
	v_add_nc_u32_e32 v18, 0xfffffc10, v21
	v_and_b32_e32 v14, 0xffff, v14
	v_lshl_or_b32 v0, v0, 9, 0x7c00
	s_wait_alu 0xfffd
	v_cndmask_b32_e32 v6, 0x7c00, v6, vcc_lo
	v_cmp_eq_u32_e32 vcc_lo, 0x40f, v19
	v_cmp_eq_u32_e64 s1, 0x40f, v18
	v_lshrrev_b32_e32 v5, 16, v5
	s_wait_alu 0xfffd
	v_dual_cndmask_b32 v19, v6, v0 :: v_dual_lshlrev_b32 v6, v20, v17
	v_cmp_ne_u32_e32 vcc_lo, 0, v2
	v_lshrrev_b32_e32 v20, 8, v3
	v_mul_f64_e32 v[0:1], s[8:9], v[11:12]
	v_sub_nc_u32_e32 v11, 0x3f1, v25
	v_and_or_b32 v19, 0x8000, v24, v19
	s_wait_alu 0xfffd
	v_cndmask_b32_e64 v2, 0, 1, vcc_lo
	v_cmp_ne_u32_e32 vcc_lo, v6, v22
	v_lshrrev_b32_e32 v3, 16, v3
	v_med3_i32 v11, v11, 0, 13
	v_lshl_or_b32 v19, v19, 16, v14
	v_and_or_b32 v2, 0xffe, v20, v2
	s_wait_alu 0xfffd
	v_cndmask_b32_e64 v6, 0, 1, vcc_lo
	v_cmp_gt_i32_e32 vcc_lo, 1, v18
	v_lshrrev_b32_e32 v14, 16, v8
	v_or_b32_e32 v20, 0x1000, v2
	s_delay_alu instid0(VALU_DEP_4) | instskip(SKIP_3) | instid1(VALU_DEP_2)
	v_or_b32_e32 v12, v17, v6
	v_lshl_or_b32 v17, v18, 12, v4
	v_cvt_f64_f32_e32 v[6:7], v7
	s_wait_alu 0xfffd
	v_cndmask_b32_e32 v12, v17, v12, vcc_lo
	v_lshrrev_b32_e32 v17, v11, v20
	v_add_co_u32 v9, vcc_lo, v15, s2
	v_add_nc_u32_e32 v15, 0xfffffc10, v25
	s_delay_alu instid0(VALU_DEP_4) | instskip(NEXT) | instid1(VALU_DEP_4)
	v_and_b32_e32 v13, 7, v12
	v_lshlrev_b32_e32 v11, v11, v17
	s_wait_alu 0xfffd
	v_add_co_ci_u32_e32 v10, vcc_lo, s3, v16, vcc_lo
	v_lshrrev_b32_e32 v12, 2, v12
	v_cmp_lt_i32_e32 vcc_lo, 5, v13
	v_cmp_ne_u32_e64 s0, v11, v20
	v_mul_f16_e32 v16, v33, v14
	s_wait_alu 0xf1ff
	s_delay_alu instid0(VALU_DEP_2)
	v_cndmask_b32_e64 v11, 0, 1, s0
	v_cmp_eq_u32_e64 s0, 3, v13
	v_lshl_or_b32 v13, v15, 12, v2
	v_fmac_f16_e32 v16, v31, v8
	v_and_or_b32 v0, 0x1ff, v1, v0
	v_or_b32_e32 v11, v17, v11
	s_or_b32 vcc_lo, s0, vcc_lo
	v_bfe_u32 v20, v1, 20, 11
	s_wait_alu 0xfffe
	v_add_co_ci_u32_e32 v17, vcc_lo, 0, v12, vcc_lo
	v_cmp_gt_i32_e32 vcc_lo, 1, v15
	v_cvt_f32_f16_e32 v12, v16
	v_lshrrev_b32_e32 v16, 8, v1
	v_mul_f16_e32 v8, v33, v8
	s_wait_alu 0xfffd
	v_cndmask_b32_e32 v13, v13, v11, vcc_lo
	v_cmp_ne_u32_e32 vcc_lo, 0, v0
	v_cvt_f64_f32_e32 v[11:12], v12
	v_mul_f64_e32 v[6:7], s[8:9], v[6:7]
	v_fma_f16 v8, v31, v14, -v8
	v_and_b32_e32 v21, 7, v13
	s_wait_alu 0xfffd
	v_cndmask_b32_e64 v0, 0, 1, vcc_lo
	v_cmp_ne_u32_e32 vcc_lo, 0, v4
	v_lshrrev_b32_e32 v13, 2, v13
	v_cvt_f32_f16_e32 v8, v8
	v_cmp_eq_u32_e64 s0, 3, v21
	v_and_or_b32 v0, 0xffe, v16, v0
	s_wait_alu 0xfffd
	v_cndmask_b32_e64 v4, 0, 1, vcc_lo
	v_cmp_gt_i32_e32 vcc_lo, 31, v18
	v_sub_nc_u32_e32 v16, 0x3f1, v20
	v_or_b32_e32 v22, 0x1000, v0
	s_delay_alu instid0(VALU_DEP_4) | instskip(SKIP_4) | instid1(VALU_DEP_3)
	v_lshl_or_b32 v4, v4, 9, 0x7c00
	s_wait_alu 0xfffd
	v_cndmask_b32_e32 v17, 0x7c00, v17, vcc_lo
	v_cmp_lt_i32_e32 vcc_lo, 5, v21
	v_med3_i32 v16, v16, 0, 13
	v_cndmask_b32_e64 v4, v17, v4, s1
	s_or_b32 vcc_lo, s0, vcc_lo
	s_delay_alu instid0(VALU_DEP_2)
	v_lshrrev_b32_e32 v17, v16, v22
	s_wait_alu 0xfffe
	v_add_co_ci_u32_e32 v13, vcc_lo, 0, v13, vcc_lo
	v_cmp_ne_u32_e32 vcc_lo, 0, v2
	v_and_or_b32 v18, 0x8000, v5, v4
	v_lshlrev_b32_e32 v16, v16, v17
	s_wait_alu 0xfffd
	v_cndmask_b32_e64 v2, 0, 1, vcc_lo
	v_cmp_gt_i32_e32 vcc_lo, 31, v15
	s_delay_alu instid0(VALU_DEP_2)
	v_lshl_or_b32 v2, v2, 9, 0x7c00
	s_wait_alu 0xfffd
	v_cndmask_b32_e32 v13, 0x7c00, v13, vcc_lo
	v_cmp_ne_u32_e32 vcc_lo, v16, v22
	v_and_or_b32 v6, 0x1ff, v7, v6
	v_bfe_u32 v14, v7, 20, 11
	s_wait_alu 0xfffd
	v_cndmask_b32_e64 v4, 0, 1, vcc_lo
	v_cmp_eq_u32_e32 vcc_lo, 0x40f, v15
	v_add_nc_u32_e32 v15, 0xfffffc10, v20
	s_delay_alu instid0(VALU_DEP_3)
	v_or_b32_e32 v16, v17, v4
	v_mul_f64_e32 v[4:5], s[8:9], v[11:12]
	s_wait_alu 0xfffd
	v_cndmask_b32_e32 v2, v13, v2, vcc_lo
	ds_load_b32 v13, v32 offset:2016
	v_lshl_or_b32 v11, v15, 12, v0
	v_cmp_gt_i32_e32 vcc_lo, 1, v15
	v_lshrrev_b32_e32 v12, 8, v7
	s_wait_alu 0xfffd
	s_delay_alu instid0(VALU_DEP_3)
	v_cndmask_b32_e32 v11, v11, v16, vcc_lo
	v_cmp_ne_u32_e32 vcc_lo, 0, v6
	v_and_or_b32 v16, 0x8000, v3, v2
	v_cvt_f64_f32_e32 v[2:3], v8
	v_sub_nc_u32_e32 v8, 0x3f1, v14
	v_and_b32_e32 v17, 7, v11
	s_wait_alu 0xfffd
	v_cndmask_b32_e64 v6, 0, 1, vcc_lo
	v_lshrrev_b32_e32 v11, 2, v11
	v_med3_i32 v8, v8, 0, 13
	v_cmp_lt_i32_e32 vcc_lo, 5, v17
	s_delay_alu instid0(VALU_DEP_4)
	v_and_or_b32 v6, 0xffe, v12, v6
	v_cmp_eq_u32_e64 s0, 3, v17
	s_wait_dscnt 0x0
	v_lshrrev_b32_e32 v20, 16, v13
	v_and_b32_e32 v12, 0xffff, v18
	v_or_b32_e32 v18, 0x1000, v6
	s_or_b32 vcc_lo, s0, vcc_lo
	s_delay_alu instid0(VALU_DEP_3)
	v_mul_f16_e32 v21, v30, v20
	s_wait_alu 0xfffe
	v_add_co_ci_u32_e32 v11, vcc_lo, 0, v11, vcc_lo
	v_lshrrev_b32_e32 v17, v8, v18
	v_cmp_ne_u32_e32 vcc_lo, 0, v0
	v_fmac_f16_e32 v21, v29, v13
	v_lshl_or_b32 v16, v16, 16, v12
	v_mul_f16_e32 v13, v30, v13
	v_lshlrev_b32_e32 v8, v8, v17
	s_wait_alu 0xfffd
	v_cndmask_b32_e64 v0, 0, 1, vcc_lo
	v_cmp_gt_i32_e32 vcc_lo, 31, v15
	v_cvt_f32_f16_e32 v12, v21
	v_and_or_b32 v4, 0x1ff, v5, v4
	v_fma_f16 v13, v29, v20, -v13
	v_lshl_or_b32 v0, v0, 9, 0x7c00
	s_wait_alu 0xfffd
	v_cndmask_b32_e32 v21, 0x7c00, v11, vcc_lo
	v_cmp_ne_u32_e32 vcc_lo, v8, v18
	v_cvt_f64_f32_e32 v[11:12], v12
	v_add_nc_u32_e32 v18, 0xfffffc10, v14
	v_lshrrev_b32_e32 v14, 8, v5
	v_cvt_f32_f16_e32 v13, v13
	s_wait_alu 0xfffd
	v_cndmask_b32_e64 v8, 0, 1, vcc_lo
	v_cmp_ne_u32_e32 vcc_lo, 0, v4
	v_lshl_or_b32 v20, v18, 12, v6
	v_mul_f64_e32 v[2:3], s[8:9], v[2:3]
	s_delay_alu instid0(VALU_DEP_4)
	v_or_b32_e32 v8, v17, v8
	s_wait_alu 0xfffd
	v_cndmask_b32_e64 v4, 0, 1, vcc_lo
	v_bfe_u32 v17, v5, 20, 11
	v_cmp_gt_i32_e32 vcc_lo, 1, v18
	v_lshrrev_b32_e32 v5, 16, v5
	s_delay_alu instid0(VALU_DEP_4) | instskip(NEXT) | instid1(VALU_DEP_4)
	v_and_or_b32 v4, 0xffe, v14, v4
	v_sub_nc_u32_e32 v14, 0x3f1, v17
	s_wait_alu 0xfffd
	v_cndmask_b32_e32 v8, v20, v8, vcc_lo
	v_cmp_eq_u32_e32 vcc_lo, 0x40f, v15
	v_or_b32_e32 v20, 0x1000, v4
	v_med3_i32 v22, v14, 0, 13
	v_cvt_f64_f32_e32 v[13:14], v13
	v_and_b32_e32 v23, 7, v8
	s_wait_alu 0xfffd
	v_cndmask_b32_e32 v15, v21, v0, vcc_lo
	v_add_co_u32 v0, vcc_lo, v9, s2
	v_lshrrev_b32_e32 v24, v22, v20
	v_lshrrev_b32_e32 v21, 16, v1
	s_wait_alu 0xfffd
	v_add_co_ci_u32_e32 v1, vcc_lo, s3, v10, vcc_lo
	v_cmp_lt_i32_e32 vcc_lo, 5, v23
	v_lshlrev_b32_e32 v22, v22, v24
	v_cmp_eq_u32_e64 s0, 3, v23
	v_lshrrev_b32_e32 v8, 2, v8
	v_and_or_b32 v15, 0x8000, v21, v15
	s_delay_alu instid0(VALU_DEP_4) | instskip(NEXT) | instid1(VALU_DEP_4)
	v_cmp_ne_u32_e64 s1, v22, v20
	s_or_b32 vcc_lo, s0, vcc_lo
	v_mul_f64_e32 v[11:12], s[8:9], v[11:12]
	s_wait_alu 0xfffe
	v_add_co_ci_u32_e32 v8, vcc_lo, 0, v8, vcc_lo
	v_cndmask_b32_e64 v20, 0, 1, s1
	v_cmp_ne_u32_e32 vcc_lo, 0, v6
	v_and_or_b32 v2, 0x1ff, v3, v2
	v_lshrrev_b32_e32 v22, 8, v3
	s_delay_alu instid0(VALU_DEP_4) | instskip(SKIP_4) | instid1(VALU_DEP_3)
	v_or_b32_e32 v20, v24, v20
	v_add_nc_u32_e32 v17, 0xfffffc10, v17
	s_wait_alu 0xfffd
	v_cndmask_b32_e64 v6, 0, 1, vcc_lo
	v_cmp_gt_i32_e32 vcc_lo, 31, v18
	v_lshl_or_b32 v21, v17, 12, v4
	s_delay_alu instid0(VALU_DEP_3)
	v_lshl_or_b32 v6, v6, 9, 0x7c00
	s_wait_alu 0xfffd
	v_cndmask_b32_e32 v8, 0x7c00, v8, vcc_lo
	v_cmp_gt_i32_e32 vcc_lo, 1, v17
	s_wait_alu 0xfffd
	v_cndmask_b32_e32 v20, v21, v20, vcc_lo
	v_cmp_eq_u32_e32 vcc_lo, 0x40f, v18
	v_lshrrev_b32_e32 v18, 16, v7
	s_wait_alu 0xfffd
	s_delay_alu instid0(VALU_DEP_3)
	v_dual_cndmask_b32 v8, v8, v6 :: v_dual_and_b32 v21, 7, v20
	v_cmp_ne_u32_e32 vcc_lo, 0, v2
	v_mul_f64_e32 v[6:7], s[8:9], v[13:14]
	v_and_b32_e32 v14, 0xffff, v15
	v_bfe_u32 v13, v3, 20, 11
	v_and_or_b32 v8, 0x8000, v18, v8
	s_wait_alu 0xfffd
	v_cndmask_b32_e64 v2, 0, 1, vcc_lo
	v_cmp_lt_i32_e32 vcc_lo, 5, v21
	v_cmp_eq_u32_e64 s0, 3, v21
	v_sub_nc_u32_e32 v15, 0x3f1, v13
	v_lshl_or_b32 v8, v8, 16, v14
	v_lshrrev_b32_e32 v14, 2, v20
	v_and_or_b32 v2, 0xffe, v22, v2
	s_or_b32 vcc_lo, s0, vcc_lo
	v_med3_i32 v15, v15, 0, 13
	v_and_or_b32 v11, 0x1ff, v12, v11
	s_wait_alu 0xfffe
	v_add_co_ci_u32_e32 v14, vcc_lo, 0, v14, vcc_lo
	v_or_b32_e32 v18, 0x1000, v2
	v_cmp_ne_u32_e32 vcc_lo, 0, v4
	v_lshrrev_b32_e32 v21, 8, v12
	v_bfe_u32 v22, v12, 20, 11
	v_lshrrev_b32_e32 v3, 16, v3
	v_lshrrev_b32_e32 v20, v15, v18
	s_wait_alu 0xfffd
	v_cndmask_b32_e64 v4, 0, 1, vcc_lo
	v_cmp_gt_i32_e32 vcc_lo, 31, v17
	v_lshrrev_b32_e32 v12, 16, v12
	v_lshlrev_b32_e32 v15, v15, v20
	s_delay_alu instid0(VALU_DEP_4)
	v_lshl_or_b32 v4, v4, 9, 0x7c00
	s_wait_alu 0xfffd
	v_cndmask_b32_e32 v14, 0x7c00, v14, vcc_lo
	v_cmp_ne_u32_e32 vcc_lo, 0, v11
	s_wait_alu 0xfffd
	v_cndmask_b32_e64 v11, 0, 1, vcc_lo
	v_cmp_ne_u32_e32 vcc_lo, v15, v18
	v_sub_nc_u32_e32 v18, 0x3f1, v22
	v_and_or_b32 v6, 0x1ff, v7, v6
	s_delay_alu instid0(VALU_DEP_4)
	v_and_or_b32 v11, 0xffe, v21, v11
	s_wait_alu 0xfffd
	v_cndmask_b32_e64 v15, 0, 1, vcc_lo
	v_cmp_eq_u32_e32 vcc_lo, 0x40f, v17
	v_add_nc_u32_e32 v13, 0xfffffc10, v13
	v_med3_i32 v18, v18, 0, 13
	v_or_b32_e32 v17, 0x1000, v11
	v_bfe_u32 v21, v7, 20, 11
	s_wait_alu 0xfffd
	v_cndmask_b32_e32 v4, v14, v4, vcc_lo
	v_or_b32_e32 v14, v20, v15
	v_lshl_or_b32 v15, v13, 12, v2
	v_cmp_gt_i32_e32 vcc_lo, 1, v13
	v_lshrrev_b32_e32 v20, 8, v7
	v_and_or_b32 v4, 0x8000, v5, v4
	s_wait_alu 0xfffd
	v_cndmask_b32_e32 v14, v15, v14, vcc_lo
	v_lshrrev_b32_e32 v15, v18, v17
	v_cmp_ne_u32_e32 vcc_lo, 0, v6
	v_and_b32_e32 v4, 0xffff, v4
	s_delay_alu instid0(VALU_DEP_4) | instskip(NEXT) | instid1(VALU_DEP_4)
	v_and_b32_e32 v23, 7, v14
	v_lshlrev_b32_e32 v18, v18, v15
	s_wait_alu 0xfffd
	v_cndmask_b32_e64 v6, 0, 1, vcc_lo
	v_lshrrev_b32_e32 v14, 2, v14
	v_cmp_lt_i32_e32 vcc_lo, 5, v23
	v_cmp_ne_u32_e64 s0, v18, v17
	s_delay_alu instid0(VALU_DEP_4)
	v_and_or_b32 v5, 0xffe, v20, v6
	v_sub_nc_u32_e32 v6, 0x3f1, v21
	v_add_nc_u32_e32 v20, 0xfffffc10, v22
	s_wait_alu 0xf1ff
	v_cndmask_b32_e64 v17, 0, 1, s0
	v_cmp_eq_u32_e64 s0, 3, v23
	v_or_b32_e32 v18, 0x1000, v5
	v_med3_i32 v6, v6, 0, 13
	v_lshl_or_b32 v22, v20, 12, v11
	v_or_b32_e32 v15, v15, v17
	s_or_b32 vcc_lo, s0, vcc_lo
	s_wait_alu 0xfffe
	v_add_co_ci_u32_e32 v14, vcc_lo, 0, v14, vcc_lo
	v_lshrrev_b32_e32 v17, v6, v18
	v_cmp_gt_i32_e32 vcc_lo, 1, v20
	s_delay_alu instid0(VALU_DEP_2)
	v_lshlrev_b32_e32 v6, v6, v17
	s_wait_alu 0xfffd
	v_cndmask_b32_e32 v15, v22, v15, vcc_lo
	v_cmp_ne_u32_e32 vcc_lo, 0, v2
	s_wait_alu 0xfffd
	v_cndmask_b32_e64 v2, 0, 1, vcc_lo
	v_cmp_ne_u32_e32 vcc_lo, v6, v18
	v_add_nc_u32_e32 v18, 0xfffffc10, v21
	v_and_b32_e32 v21, 7, v15
	s_delay_alu instid0(VALU_DEP_4)
	v_lshl_or_b32 v2, v2, 9, 0x7c00
	s_wait_alu 0xfffd
	v_cndmask_b32_e64 v6, 0, 1, vcc_lo
	v_cmp_gt_i32_e32 vcc_lo, 31, v13
	v_cmp_gt_i32_e64 s1, 1, v18
	v_cmp_eq_u32_e64 s0, 3, v21
	s_delay_alu instid0(VALU_DEP_4)
	v_or_b32_e32 v6, v17, v6
	v_lshl_or_b32 v17, v18, 12, v5
	s_wait_alu 0xfffd
	v_cndmask_b32_e32 v14, 0x7c00, v14, vcc_lo
	v_cmp_lt_i32_e32 vcc_lo, 5, v21
	s_wait_alu 0xf1ff
	v_cndmask_b32_e64 v6, v17, v6, s1
	v_cmp_eq_u32_e64 s1, 0x40f, v13
	v_lshrrev_b32_e32 v13, 2, v15
	s_or_b32 vcc_lo, s0, vcc_lo
	s_delay_alu instid0(VALU_DEP_2) | instskip(SKIP_1) | instid1(VALU_DEP_2)
	v_cndmask_b32_e64 v2, v14, v2, s1
	s_wait_alu 0xfffe
	v_add_co_ci_u32_e32 v13, vcc_lo, 0, v13, vcc_lo
	v_and_b32_e32 v14, 7, v6
	v_cmp_ne_u32_e32 vcc_lo, 0, v11
	v_lshrrev_b32_e32 v6, 2, v6
	v_cmp_gt_i32_e64 s1, 31, v20
	s_delay_alu instid0(VALU_DEP_4)
	v_cmp_eq_u32_e64 s0, 3, v14
	s_wait_alu 0xfffd
	v_cndmask_b32_e64 v11, 0, 1, vcc_lo
	v_cmp_lt_i32_e32 vcc_lo, 5, v14
	s_wait_alu 0xf1ff
	v_cndmask_b32_e64 v13, 0x7c00, v13, s1
	s_delay_alu instid0(VALU_DEP_3)
	v_lshl_or_b32 v11, v11, 9, 0x7c00
	s_or_b32 vcc_lo, s0, vcc_lo
	s_wait_alu 0xfffe
	v_add_co_ci_u32_e32 v6, vcc_lo, 0, v6, vcc_lo
	v_cmp_ne_u32_e32 vcc_lo, 0, v5
	s_wait_alu 0xfffd
	v_cndmask_b32_e64 v5, 0, 1, vcc_lo
	v_cmp_eq_u32_e32 vcc_lo, 0x40f, v20
	s_delay_alu instid0(VALU_DEP_2) | instskip(SKIP_4) | instid1(VALU_DEP_3)
	v_lshl_or_b32 v5, v5, 9, 0x7c00
	s_wait_alu 0xfffd
	v_cndmask_b32_e32 v11, v13, v11, vcc_lo
	v_cmp_gt_i32_e32 vcc_lo, 31, v18
	v_and_or_b32 v13, 0x8000, v3, v2
	v_and_or_b32 v11, 0x8000, v12, v11
	s_wait_alu 0xfffd
	v_cndmask_b32_e32 v6, 0x7c00, v6, vcc_lo
	v_cmp_eq_u32_e32 vcc_lo, 0x40f, v18
	v_lshl_or_b32 v12, v13, 16, v4
	s_wait_alu 0xfffd
	s_delay_alu instid0(VALU_DEP_3) | instskip(SKIP_4) | instid1(VALU_DEP_3)
	v_cndmask_b32_e32 v5, v6, v5, vcc_lo
	v_lshrrev_b32_e32 v6, 16, v7
	v_add_co_u32 v2, vcc_lo, v0, s2
	s_wait_alu 0xfffd
	v_add_co_ci_u32_e32 v3, vcc_lo, s3, v1, vcc_lo
	v_and_or_b32 v6, 0x8000, v6, v5
	v_and_b32_e32 v7, 0xffff, v11
	v_add_co_u32 v4, vcc_lo, v2, s2
	s_wait_alu 0xfffd
	v_add_co_ci_u32_e32 v5, vcc_lo, s3, v3, vcc_lo
	s_delay_alu instid0(VALU_DEP_3) | instskip(NEXT) | instid1(VALU_DEP_3)
	v_lshl_or_b32 v11, v6, 16, v7
	v_add_co_u32 v6, vcc_lo, v4, s2
	s_wait_alu 0xfffd
	s_delay_alu instid0(VALU_DEP_3)
	v_add_co_ci_u32_e32 v7, vcc_lo, s3, v5, vcc_lo
	s_clause 0x2
	global_store_b32 v[9:10], v19, off
	global_store_b32 v[0:1], v16, off
	;; [unrolled: 1-line block ×5, first 2 shown]
.LBB0_18:
	s_nop 0
	s_sendmsg sendmsg(MSG_DEALLOC_VGPRS)
	s_endpgm
	.section	.rodata,"a",@progbits
	.p2align	6, 0x0
	.amdhsa_kernel bluestein_single_fwd_len588_dim1_half_op_CI_CI
		.amdhsa_group_segment_fixed_size 7056
		.amdhsa_private_segment_fixed_size 0
		.amdhsa_kernarg_size 104
		.amdhsa_user_sgpr_count 2
		.amdhsa_user_sgpr_dispatch_ptr 0
		.amdhsa_user_sgpr_queue_ptr 0
		.amdhsa_user_sgpr_kernarg_segment_ptr 1
		.amdhsa_user_sgpr_dispatch_id 0
		.amdhsa_user_sgpr_private_segment_size 0
		.amdhsa_wavefront_size32 1
		.amdhsa_uses_dynamic_stack 0
		.amdhsa_enable_private_segment 0
		.amdhsa_system_sgpr_workgroup_id_x 1
		.amdhsa_system_sgpr_workgroup_id_y 0
		.amdhsa_system_sgpr_workgroup_id_z 0
		.amdhsa_system_sgpr_workgroup_info 0
		.amdhsa_system_vgpr_workitem_id 0
		.amdhsa_next_free_vgpr 102
		.amdhsa_next_free_sgpr 20
		.amdhsa_reserve_vcc 1
		.amdhsa_float_round_mode_32 0
		.amdhsa_float_round_mode_16_64 0
		.amdhsa_float_denorm_mode_32 3
		.amdhsa_float_denorm_mode_16_64 3
		.amdhsa_fp16_overflow 0
		.amdhsa_workgroup_processor_mode 1
		.amdhsa_memory_ordered 1
		.amdhsa_forward_progress 0
		.amdhsa_round_robin_scheduling 0
		.amdhsa_exception_fp_ieee_invalid_op 0
		.amdhsa_exception_fp_denorm_src 0
		.amdhsa_exception_fp_ieee_div_zero 0
		.amdhsa_exception_fp_ieee_overflow 0
		.amdhsa_exception_fp_ieee_underflow 0
		.amdhsa_exception_fp_ieee_inexact 0
		.amdhsa_exception_int_div_zero 0
	.end_amdhsa_kernel
	.text
.Lfunc_end0:
	.size	bluestein_single_fwd_len588_dim1_half_op_CI_CI, .Lfunc_end0-bluestein_single_fwd_len588_dim1_half_op_CI_CI
                                        ; -- End function
	.section	.AMDGPU.csdata,"",@progbits
; Kernel info:
; codeLenInByte = 12276
; NumSgprs: 22
; NumVgprs: 102
; ScratchSize: 0
; MemoryBound: 0
; FloatMode: 240
; IeeeMode: 1
; LDSByteSize: 7056 bytes/workgroup (compile time only)
; SGPRBlocks: 2
; VGPRBlocks: 12
; NumSGPRsForWavesPerEU: 22
; NumVGPRsForWavesPerEU: 102
; Occupancy: 12
; WaveLimiterHint : 1
; COMPUTE_PGM_RSRC2:SCRATCH_EN: 0
; COMPUTE_PGM_RSRC2:USER_SGPR: 2
; COMPUTE_PGM_RSRC2:TRAP_HANDLER: 0
; COMPUTE_PGM_RSRC2:TGID_X_EN: 1
; COMPUTE_PGM_RSRC2:TGID_Y_EN: 0
; COMPUTE_PGM_RSRC2:TGID_Z_EN: 0
; COMPUTE_PGM_RSRC2:TIDIG_COMP_CNT: 0
	.text
	.p2alignl 7, 3214868480
	.fill 96, 4, 3214868480
	.type	__hip_cuid_820f9c265c521894,@object ; @__hip_cuid_820f9c265c521894
	.section	.bss,"aw",@nobits
	.globl	__hip_cuid_820f9c265c521894
__hip_cuid_820f9c265c521894:
	.byte	0                               ; 0x0
	.size	__hip_cuid_820f9c265c521894, 1

	.ident	"AMD clang version 19.0.0git (https://github.com/RadeonOpenCompute/llvm-project roc-6.4.0 25133 c7fe45cf4b819c5991fe208aaa96edf142730f1d)"
	.section	".note.GNU-stack","",@progbits
	.addrsig
	.addrsig_sym __hip_cuid_820f9c265c521894
	.amdgpu_metadata
---
amdhsa.kernels:
  - .args:
      - .actual_access:  read_only
        .address_space:  global
        .offset:         0
        .size:           8
        .value_kind:     global_buffer
      - .actual_access:  read_only
        .address_space:  global
        .offset:         8
        .size:           8
        .value_kind:     global_buffer
      - .actual_access:  read_only
        .address_space:  global
        .offset:         16
        .size:           8
        .value_kind:     global_buffer
      - .actual_access:  read_only
        .address_space:  global
        .offset:         24
        .size:           8
        .value_kind:     global_buffer
      - .actual_access:  read_only
        .address_space:  global
        .offset:         32
        .size:           8
        .value_kind:     global_buffer
      - .offset:         40
        .size:           8
        .value_kind:     by_value
      - .address_space:  global
        .offset:         48
        .size:           8
        .value_kind:     global_buffer
      - .address_space:  global
        .offset:         56
        .size:           8
        .value_kind:     global_buffer
      - .address_space:  global
        .offset:         64
        .size:           8
        .value_kind:     global_buffer
      - .address_space:  global
        .offset:         72
        .size:           8
        .value_kind:     global_buffer
      - .offset:         80
        .size:           4
        .value_kind:     by_value
      - .address_space:  global
        .offset:         88
        .size:           8
        .value_kind:     global_buffer
      - .address_space:  global
        .offset:         96
        .size:           8
        .value_kind:     global_buffer
    .group_segment_fixed_size: 7056
    .kernarg_segment_align: 8
    .kernarg_segment_size: 104
    .language:       OpenCL C
    .language_version:
      - 2
      - 0
    .max_flat_workgroup_size: 252
    .name:           bluestein_single_fwd_len588_dim1_half_op_CI_CI
    .private_segment_fixed_size: 0
    .sgpr_count:     22
    .sgpr_spill_count: 0
    .symbol:         bluestein_single_fwd_len588_dim1_half_op_CI_CI.kd
    .uniform_work_group_size: 1
    .uses_dynamic_stack: false
    .vgpr_count:     102
    .vgpr_spill_count: 0
    .wavefront_size: 32
    .workgroup_processor_mode: 1
amdhsa.target:   amdgcn-amd-amdhsa--gfx1201
amdhsa.version:
  - 1
  - 2
...

	.end_amdgpu_metadata
